;; amdgpu-corpus repo=ROCm/rocFFT kind=compiled arch=gfx1201 opt=O3
	.text
	.amdgcn_target "amdgcn-amd-amdhsa--gfx1201"
	.amdhsa_code_object_version 6
	.protected	fft_rtc_fwd_len306_factors_17_2_9_wgs_238_tpt_34_halfLds_half_ip_CI_unitstride_sbrr_R2C_dirReg ; -- Begin function fft_rtc_fwd_len306_factors_17_2_9_wgs_238_tpt_34_halfLds_half_ip_CI_unitstride_sbrr_R2C_dirReg
	.globl	fft_rtc_fwd_len306_factors_17_2_9_wgs_238_tpt_34_halfLds_half_ip_CI_unitstride_sbrr_R2C_dirReg
	.p2align	8
	.type	fft_rtc_fwd_len306_factors_17_2_9_wgs_238_tpt_34_halfLds_half_ip_CI_unitstride_sbrr_R2C_dirReg,@function
fft_rtc_fwd_len306_factors_17_2_9_wgs_238_tpt_34_halfLds_half_ip_CI_unitstride_sbrr_R2C_dirReg: ; @fft_rtc_fwd_len306_factors_17_2_9_wgs_238_tpt_34_halfLds_half_ip_CI_unitstride_sbrr_R2C_dirReg
; %bb.0:
	s_load_b128 s[4:7], s[0:1], 0x0
	v_mul_u32_u24_e32 v1, 0x788, v0
	s_clause 0x1
	s_load_b64 s[8:9], s[0:1], 0x50
	s_load_b64 s[10:11], s[0:1], 0x18
	v_mov_b32_e32 v5, 0
	v_lshrrev_b32_e32 v1, 16, v1
	s_delay_alu instid0(VALU_DEP_1) | instskip(SKIP_3) | instid1(VALU_DEP_1)
	v_mad_co_u64_u32 v[1:2], null, ttmp9, 7, v[1:2]
	v_mov_b32_e32 v3, 0
	v_mov_b32_e32 v4, 0
	;; [unrolled: 1-line block ×4, first 2 shown]
	s_wait_kmcnt 0x0
	v_cmp_lt_u64_e64 s2, s[6:7], 2
	v_mov_b32_e32 v9, v1
	s_delay_alu instid0(VALU_DEP_2)
	s_and_b32 vcc_lo, exec_lo, s2
	s_cbranch_vccnz .LBB0_8
; %bb.1:
	s_load_b64 s[2:3], s[0:1], 0x10
	v_dual_mov_b32 v3, 0 :: v_dual_mov_b32 v8, v2
	v_dual_mov_b32 v4, 0 :: v_dual_mov_b32 v7, v1
	s_add_nc_u64 s[12:13], s[10:11], 8
	s_mov_b64 s[14:15], 1
	s_wait_kmcnt 0x0
	s_add_nc_u64 s[16:17], s[2:3], 8
	s_mov_b32 s3, 0
.LBB0_2:                                ; =>This Inner Loop Header: Depth=1
	s_load_b64 s[18:19], s[16:17], 0x0
                                        ; implicit-def: $vgpr9_vgpr10
	s_mov_b32 s2, exec_lo
	s_wait_kmcnt 0x0
	v_or_b32_e32 v6, s19, v8
	s_delay_alu instid0(VALU_DEP_1)
	v_cmpx_ne_u64_e32 0, v[5:6]
	s_wait_alu 0xfffe
	s_xor_b32 s20, exec_lo, s2
	s_cbranch_execz .LBB0_4
; %bb.3:                                ;   in Loop: Header=BB0_2 Depth=1
	s_cvt_f32_u32 s2, s18
	s_cvt_f32_u32 s21, s19
	s_sub_nc_u64 s[24:25], 0, s[18:19]
	s_wait_alu 0xfffe
	s_delay_alu instid0(SALU_CYCLE_1) | instskip(SKIP_1) | instid1(SALU_CYCLE_2)
	s_fmamk_f32 s2, s21, 0x4f800000, s2
	s_wait_alu 0xfffe
	v_s_rcp_f32 s2, s2
	s_delay_alu instid0(TRANS32_DEP_1) | instskip(SKIP_1) | instid1(SALU_CYCLE_2)
	s_mul_f32 s2, s2, 0x5f7ffffc
	s_wait_alu 0xfffe
	s_mul_f32 s21, s2, 0x2f800000
	s_wait_alu 0xfffe
	s_delay_alu instid0(SALU_CYCLE_2) | instskip(SKIP_1) | instid1(SALU_CYCLE_2)
	s_trunc_f32 s21, s21
	s_wait_alu 0xfffe
	s_fmamk_f32 s2, s21, 0xcf800000, s2
	s_cvt_u32_f32 s23, s21
	s_wait_alu 0xfffe
	s_delay_alu instid0(SALU_CYCLE_1) | instskip(SKIP_1) | instid1(SALU_CYCLE_2)
	s_cvt_u32_f32 s22, s2
	s_wait_alu 0xfffe
	s_mul_u64 s[26:27], s[24:25], s[22:23]
	s_wait_alu 0xfffe
	s_mul_hi_u32 s29, s22, s27
	s_mul_i32 s28, s22, s27
	s_mul_hi_u32 s2, s22, s26
	s_mul_i32 s30, s23, s26
	s_wait_alu 0xfffe
	s_add_nc_u64 s[28:29], s[2:3], s[28:29]
	s_mul_hi_u32 s21, s23, s26
	s_mul_hi_u32 s31, s23, s27
	s_add_co_u32 s2, s28, s30
	s_wait_alu 0xfffe
	s_add_co_ci_u32 s2, s29, s21
	s_mul_i32 s26, s23, s27
	s_add_co_ci_u32 s27, s31, 0
	s_wait_alu 0xfffe
	s_add_nc_u64 s[26:27], s[2:3], s[26:27]
	s_wait_alu 0xfffe
	v_add_co_u32 v2, s2, s22, s26
	s_delay_alu instid0(VALU_DEP_1) | instskip(SKIP_1) | instid1(VALU_DEP_1)
	s_cmp_lg_u32 s2, 0
	s_add_co_ci_u32 s23, s23, s27
	v_readfirstlane_b32 s22, v2
	s_wait_alu 0xfffe
	s_delay_alu instid0(VALU_DEP_1)
	s_mul_u64 s[24:25], s[24:25], s[22:23]
	s_wait_alu 0xfffe
	s_mul_hi_u32 s27, s22, s25
	s_mul_i32 s26, s22, s25
	s_mul_hi_u32 s2, s22, s24
	s_mul_i32 s28, s23, s24
	s_wait_alu 0xfffe
	s_add_nc_u64 s[26:27], s[2:3], s[26:27]
	s_mul_hi_u32 s21, s23, s24
	s_mul_hi_u32 s22, s23, s25
	s_wait_alu 0xfffe
	s_add_co_u32 s2, s26, s28
	s_add_co_ci_u32 s2, s27, s21
	s_mul_i32 s24, s23, s25
	s_add_co_ci_u32 s25, s22, 0
	s_wait_alu 0xfffe
	s_add_nc_u64 s[24:25], s[2:3], s[24:25]
	s_wait_alu 0xfffe
	v_add_co_u32 v2, s2, v2, s24
	s_delay_alu instid0(VALU_DEP_1) | instskip(SKIP_1) | instid1(VALU_DEP_1)
	s_cmp_lg_u32 s2, 0
	s_add_co_ci_u32 s2, s23, s25
	v_mul_hi_u32 v6, v7, v2
	s_wait_alu 0xfffe
	v_mad_co_u64_u32 v[9:10], null, v7, s2, 0
	v_mad_co_u64_u32 v[11:12], null, v8, v2, 0
	;; [unrolled: 1-line block ×3, first 2 shown]
	s_delay_alu instid0(VALU_DEP_3) | instskip(SKIP_1) | instid1(VALU_DEP_4)
	v_add_co_u32 v2, vcc_lo, v6, v9
	s_wait_alu 0xfffd
	v_add_co_ci_u32_e32 v6, vcc_lo, 0, v10, vcc_lo
	s_delay_alu instid0(VALU_DEP_2) | instskip(SKIP_1) | instid1(VALU_DEP_2)
	v_add_co_u32 v2, vcc_lo, v2, v11
	s_wait_alu 0xfffd
	v_add_co_ci_u32_e32 v2, vcc_lo, v6, v12, vcc_lo
	s_wait_alu 0xfffd
	v_add_co_ci_u32_e32 v6, vcc_lo, 0, v14, vcc_lo
	s_delay_alu instid0(VALU_DEP_2) | instskip(SKIP_1) | instid1(VALU_DEP_2)
	v_add_co_u32 v2, vcc_lo, v2, v13
	s_wait_alu 0xfffd
	v_add_co_ci_u32_e32 v6, vcc_lo, 0, v6, vcc_lo
	s_delay_alu instid0(VALU_DEP_2) | instskip(SKIP_1) | instid1(VALU_DEP_3)
	v_mul_lo_u32 v11, s19, v2
	v_mad_co_u64_u32 v[9:10], null, s18, v2, 0
	v_mul_lo_u32 v12, s18, v6
	s_delay_alu instid0(VALU_DEP_2) | instskip(NEXT) | instid1(VALU_DEP_2)
	v_sub_co_u32 v9, vcc_lo, v7, v9
	v_add3_u32 v10, v10, v12, v11
	s_delay_alu instid0(VALU_DEP_1) | instskip(SKIP_1) | instid1(VALU_DEP_1)
	v_sub_nc_u32_e32 v11, v8, v10
	s_wait_alu 0xfffd
	v_subrev_co_ci_u32_e64 v11, s2, s19, v11, vcc_lo
	v_add_co_u32 v12, s2, v2, 2
	s_wait_alu 0xf1ff
	v_add_co_ci_u32_e64 v13, s2, 0, v6, s2
	v_sub_co_u32 v14, s2, v9, s18
	v_sub_co_ci_u32_e32 v10, vcc_lo, v8, v10, vcc_lo
	s_wait_alu 0xf1ff
	v_subrev_co_ci_u32_e64 v11, s2, 0, v11, s2
	s_delay_alu instid0(VALU_DEP_3) | instskip(NEXT) | instid1(VALU_DEP_3)
	v_cmp_le_u32_e32 vcc_lo, s18, v14
	v_cmp_eq_u32_e64 s2, s19, v10
	s_wait_alu 0xfffd
	v_cndmask_b32_e64 v14, 0, -1, vcc_lo
	v_cmp_le_u32_e32 vcc_lo, s19, v11
	s_wait_alu 0xfffd
	v_cndmask_b32_e64 v15, 0, -1, vcc_lo
	v_cmp_le_u32_e32 vcc_lo, s18, v9
	;; [unrolled: 3-line block ×3, first 2 shown]
	s_wait_alu 0xfffd
	v_cndmask_b32_e64 v16, 0, -1, vcc_lo
	v_cmp_eq_u32_e32 vcc_lo, s19, v11
	s_wait_alu 0xf1ff
	s_delay_alu instid0(VALU_DEP_2)
	v_cndmask_b32_e64 v9, v16, v9, s2
	s_wait_alu 0xfffd
	v_cndmask_b32_e32 v11, v15, v14, vcc_lo
	v_add_co_u32 v14, vcc_lo, v2, 1
	s_wait_alu 0xfffd
	v_add_co_ci_u32_e32 v15, vcc_lo, 0, v6, vcc_lo
	s_delay_alu instid0(VALU_DEP_3) | instskip(SKIP_1) | instid1(VALU_DEP_2)
	v_cmp_ne_u32_e32 vcc_lo, 0, v11
	s_wait_alu 0xfffd
	v_dual_cndmask_b32 v10, v15, v13 :: v_dual_cndmask_b32 v11, v14, v12
	v_cmp_ne_u32_e32 vcc_lo, 0, v9
	s_wait_alu 0xfffd
	s_delay_alu instid0(VALU_DEP_2) | instskip(NEXT) | instid1(VALU_DEP_3)
	v_cndmask_b32_e32 v10, v6, v10, vcc_lo
	v_cndmask_b32_e32 v9, v2, v11, vcc_lo
.LBB0_4:                                ;   in Loop: Header=BB0_2 Depth=1
	s_wait_alu 0xfffe
	s_and_not1_saveexec_b32 s2, s20
	s_cbranch_execz .LBB0_6
; %bb.5:                                ;   in Loop: Header=BB0_2 Depth=1
	v_cvt_f32_u32_e32 v2, s18
	s_sub_co_i32 s20, 0, s18
	s_delay_alu instid0(VALU_DEP_1) | instskip(NEXT) | instid1(TRANS32_DEP_1)
	v_rcp_iflag_f32_e32 v2, v2
	v_mul_f32_e32 v2, 0x4f7ffffe, v2
	s_delay_alu instid0(VALU_DEP_1) | instskip(SKIP_1) | instid1(VALU_DEP_1)
	v_cvt_u32_f32_e32 v2, v2
	s_wait_alu 0xfffe
	v_mul_lo_u32 v6, s20, v2
	s_delay_alu instid0(VALU_DEP_1) | instskip(NEXT) | instid1(VALU_DEP_1)
	v_mul_hi_u32 v6, v2, v6
	v_add_nc_u32_e32 v2, v2, v6
	s_delay_alu instid0(VALU_DEP_1) | instskip(NEXT) | instid1(VALU_DEP_1)
	v_mul_hi_u32 v2, v7, v2
	v_mul_lo_u32 v6, v2, s18
	v_add_nc_u32_e32 v9, 1, v2
	s_delay_alu instid0(VALU_DEP_2) | instskip(NEXT) | instid1(VALU_DEP_1)
	v_sub_nc_u32_e32 v6, v7, v6
	v_subrev_nc_u32_e32 v10, s18, v6
	v_cmp_le_u32_e32 vcc_lo, s18, v6
	s_wait_alu 0xfffd
	s_delay_alu instid0(VALU_DEP_2) | instskip(SKIP_2) | instid1(VALU_DEP_3)
	v_cndmask_b32_e32 v6, v6, v10, vcc_lo
	v_mov_b32_e32 v10, v5
	v_cndmask_b32_e32 v2, v2, v9, vcc_lo
	v_cmp_le_u32_e32 vcc_lo, s18, v6
	s_delay_alu instid0(VALU_DEP_2) | instskip(SKIP_1) | instid1(VALU_DEP_1)
	v_add_nc_u32_e32 v9, 1, v2
	s_wait_alu 0xfffd
	v_cndmask_b32_e32 v9, v2, v9, vcc_lo
.LBB0_6:                                ;   in Loop: Header=BB0_2 Depth=1
	s_wait_alu 0xfffe
	s_or_b32 exec_lo, exec_lo, s2
	s_load_b64 s[20:21], s[12:13], 0x0
	v_mul_lo_u32 v2, v10, s18
	v_mul_lo_u32 v6, v9, s19
	v_mad_co_u64_u32 v[11:12], null, v9, s18, 0
	s_add_nc_u64 s[14:15], s[14:15], 1
	s_add_nc_u64 s[12:13], s[12:13], 8
	s_wait_alu 0xfffe
	v_cmp_ge_u64_e64 s2, s[14:15], s[6:7]
	s_add_nc_u64 s[16:17], s[16:17], 8
	s_delay_alu instid0(VALU_DEP_2) | instskip(NEXT) | instid1(VALU_DEP_3)
	v_add3_u32 v2, v12, v6, v2
	v_sub_co_u32 v6, vcc_lo, v7, v11
	s_wait_alu 0xfffd
	s_delay_alu instid0(VALU_DEP_2) | instskip(SKIP_3) | instid1(VALU_DEP_2)
	v_sub_co_ci_u32_e32 v2, vcc_lo, v8, v2, vcc_lo
	s_and_b32 vcc_lo, exec_lo, s2
	s_wait_kmcnt 0x0
	v_mul_lo_u32 v7, s21, v6
	v_mul_lo_u32 v2, s20, v2
	v_mad_co_u64_u32 v[3:4], null, s20, v6, v[3:4]
	s_delay_alu instid0(VALU_DEP_1)
	v_add3_u32 v4, v7, v4, v2
	s_wait_alu 0xfffe
	s_cbranch_vccnz .LBB0_8
; %bb.7:                                ;   in Loop: Header=BB0_2 Depth=1
	v_dual_mov_b32 v7, v9 :: v_dual_mov_b32 v8, v10
	s_branch .LBB0_2
.LBB0_8:
	v_mul_hi_u32 v2, 0x24924925, v1
	s_lshl_b64 s[2:3], s[6:7], 3
	s_load_b64 s[0:1], s[0:1], 0x20
	s_add_nc_u64 s[2:3], s[10:11], s[2:3]
	s_load_b64 s[2:3], s[2:3], 0x0
	s_delay_alu instid0(VALU_DEP_1) | instskip(NEXT) | instid1(VALU_DEP_1)
	v_sub_nc_u32_e32 v5, v1, v2
	v_lshrrev_b32_e32 v5, 1, v5
	s_delay_alu instid0(VALU_DEP_1) | instskip(SKIP_3) | instid1(VALU_DEP_3)
	v_add_nc_u32_e32 v2, v5, v2
	v_mul_hi_u32 v5, 0x7878788, v0
	s_wait_kmcnt 0x0
	v_cmp_gt_u64_e32 vcc_lo, s[0:1], v[9:10]
	v_lshrrev_b32_e32 v2, 2, v2
	v_mul_lo_u32 v7, s2, v10
	v_mul_lo_u32 v8, s3, v9
	s_delay_alu instid0(VALU_DEP_3) | instskip(SKIP_2) | instid1(VALU_DEP_1)
	v_mul_lo_u32 v6, v2, 7
	v_mad_co_u64_u32 v[2:3], null, s2, v9, v[3:4]
	v_mul_u32_u24_e32 v4, 34, v5
	v_sub_nc_u32_e32 v0, v0, v4
	s_delay_alu instid0(VALU_DEP_4) | instskip(NEXT) | instid1(VALU_DEP_4)
	v_sub_nc_u32_e32 v1, v1, v6
	v_add3_u32 v3, v8, v3, v7
	s_delay_alu instid0(VALU_DEP_3) | instskip(NEXT) | instid1(VALU_DEP_3)
	v_lshlrev_b32_e32 v23, 2, v0
	v_mul_u32_u24_e32 v1, 0x133, v1
	s_delay_alu instid0(VALU_DEP_3) | instskip(NEXT) | instid1(VALU_DEP_2)
	v_lshlrev_b64_e32 v[2:3], 2, v[2:3]
	v_lshlrev_b32_e32 v25, 2, v1
	s_and_saveexec_b32 s1, vcc_lo
	s_cbranch_execz .LBB0_10
; %bb.9:
	v_mov_b32_e32 v1, 0
	s_delay_alu instid0(VALU_DEP_1) | instskip(SKIP_3) | instid1(VALU_DEP_2)
	v_lshlrev_b64_e32 v[4:5], 2, v[0:1]
	v_add_co_u32 v1, s0, s8, v2
	s_wait_alu 0xf1ff
	v_add_co_ci_u32_e64 v6, s0, s9, v3, s0
	v_add_co_u32 v4, s0, v1, v4
	s_wait_alu 0xf1ff
	s_delay_alu instid0(VALU_DEP_2)
	v_add_co_ci_u32_e64 v5, s0, v6, v5, s0
	s_clause 0x8
	global_load_b32 v1, v[4:5], off
	global_load_b32 v6, v[4:5], off offset:136
	global_load_b32 v7, v[4:5], off offset:272
	;; [unrolled: 1-line block ×8, first 2 shown]
	v_add3_u32 v5, 0, v25, v23
	s_wait_loadcnt 0x7
	ds_store_2addr_b32 v5, v1, v6 offset1:34
	s_wait_loadcnt 0x5
	ds_store_2addr_b32 v5, v7, v8 offset0:68 offset1:102
	s_wait_loadcnt 0x3
	ds_store_2addr_b32 v5, v9, v10 offset0:136 offset1:170
	s_wait_loadcnt 0x1
	ds_store_2addr_b32 v5, v11, v12 offset0:204 offset1:238
	s_wait_loadcnt 0x0
	ds_store_b32 v5, v4 offset:1088
.LBB0_10:
	s_wait_alu 0xfffe
	s_or_b32 exec_lo, exec_lo, s1
	v_add3_u32 v24, 0, v23, v25
	v_add_nc_u32_e32 v1, 0, v25
	global_wb scope:SCOPE_SE
	s_wait_dscnt 0x0
	s_barrier_signal -1
	s_barrier_wait -1
	v_add_nc_u32_e32 v4, 0x400, v24
	v_add_nc_u32_e32 v22, v1, v23
	global_inv scope:SCOPE_SE
	ds_load_2addr_b32 v[8:9], v24 offset0:234 offset1:252
	ds_load_2addr_b32 v[18:19], v24 offset0:54 offset1:72
	;; [unrolled: 1-line block ×4, first 2 shown]
	ds_load_b32 v28, v22
	ds_load_2addr_b32 v[14:15], v24 offset0:126 offset1:144
	ds_load_2addr_b32 v[12:13], v24 offset0:162 offset1:180
	;; [unrolled: 1-line block ×4, first 2 shown]
	s_mov_b32 s1, exec_lo
	global_wb scope:SCOPE_SE
	s_wait_dscnt 0x0
	s_barrier_signal -1
	s_barrier_wait -1
	global_inv scope:SCOPE_SE
	v_pk_add_f16 v37, v20, v7 neg_lo:[0,1] neg_hi:[0,1]
	v_pk_add_f16 v33, v7, v20
	v_pk_add_f16 v39, v21, v6 neg_lo:[0,1] neg_hi:[0,1]
	v_pk_add_f16 v31, v6, v21
	v_pk_add_f16 v35, v18, v9 neg_lo:[0,1] neg_hi:[0,1]
	v_lshrrev_b32_e32 v59, 16, v37
	v_lshrrev_b32_e32 v48, 16, v33
	v_mul_f16_e32 v5, 0xb1e1, v37
	v_lshrrev_b32_e32 v58, 16, v39
	v_lshrrev_b32_e32 v32, 16, v28
	v_mul_f16_e32 v40, 0xb1e1, v59
	;; [unrolled: 3-line block ×3, first 2 shown]
	v_fmamk_f16 v41, v48, 0xbbdd, v5
	v_mul_f16_e32 v42, 0x35c8, v58
	v_fma_f16 v44, v33, 0xbbdd, -v40
	v_pk_add_f16 v29, v9, v18
	v_pk_add_f16 v36, v19, v8 neg_lo:[0,1] neg_hi:[0,1]
	v_mul_f16_e32 v27, 0xb836, v57
	v_fma_f16 v5, v48, 0xbbdd, -v5
	v_fmamk_f16 v43, v47, 0x3b76, v26
	v_add_f16_e32 v41, v32, v41
	v_fmac_f16_e32 v40, 0xbbdd, v33
	v_fma_f16 v49, v31, 0x3b76, -v42
	v_add_f16_e32 v44, v28, v44
	v_pk_add_f16 v30, v8, v19
	v_lshrrev_b32_e32 v46, 16, v29
	v_mul_f16_e32 v4, 0xb836, v35
	v_lshrrev_b32_e32 v55, 16, v36
	v_fma_f16 v26, v47, 0x3b76, -v26
	v_fma_f16 v45, v29, 0xbacd, -v27
	v_add_f16_e32 v5, v32, v5
	v_fmac_f16_e32 v42, 0x3b76, v31
	v_add_f16_e32 v40, v28, v40
	v_add_f16_e32 v41, v43, v41
	;; [unrolled: 1-line block ×3, first 2 shown]
	v_fmamk_f16 v34, v46, 0xbacd, v4
	v_mul_f16_e32 v38, 0x3964, v55
	v_fmac_f16_e32 v27, 0xbacd, v29
	v_add_f16_e32 v5, v26, v5
	v_add_f16_e32 v26, v42, v40
	;; [unrolled: 1-line block ×3, first 2 shown]
	v_lshrrev_b32_e32 v49, 16, v30
	v_mul_f16_e32 v43, 0x3964, v36
	v_pk_add_f16 v40, v16, v11 neg_lo:[0,1] neg_hi:[0,1]
	v_add_f16_e32 v41, v34, v41
	v_add_f16_e32 v26, v27, v26
	v_fma_f16 v4, v46, 0xbacd, -v4
	v_fma_f16 v27, v30, 0x39e9, -v38
	v_fmamk_f16 v44, v49, 0x39e9, v43
	v_lshrrev_b32_e32 v60, 16, v40
	v_pk_add_f16 v34, v11, v16
	v_add_f16_e32 v4, v4, v5
	v_add_f16_e32 v5, v27, v42
	;; [unrolled: 1-line block ×3, first 2 shown]
	v_mul_f16_e32 v41, 0xba62, v60
	v_pk_add_f16 v44, v17, v10 neg_lo:[0,1] neg_hi:[0,1]
	v_lshrrev_b32_e32 v50, 16, v34
	v_mul_f16_e32 v42, 0xba62, v40
	v_fmac_f16_e32 v38, 0x39e9, v30
	v_fma_f16 v43, v49, 0x39e9, -v43
	v_fma_f16 v45, v34, 0xb8d2, -v41
	v_lshrrev_b32_e32 v62, 16, v44
	v_fmamk_f16 v51, v50, 0xb8d2, v42
	v_add_f16_e32 v26, v38, v26
	v_add_f16_e32 v4, v43, v4
	;; [unrolled: 1-line block ×3, first 2 shown]
	v_pk_add_f16 v38, v10, v17
	v_fmac_f16_e32 v41, 0xb8d2, v34
	v_fma_f16 v42, v50, 0xb8d2, -v42
	v_mul_f16_e32 v43, 0x3b29, v62
	v_pk_add_f16 v45, v14, v13 neg_lo:[0,1] neg_hi:[0,1]
	v_add_f16_e32 v27, v51, v27
	v_lshrrev_b32_e32 v52, 16, v38
	v_mul_f16_e32 v51, 0x3b29, v44
	v_add_f16_e32 v26, v41, v26
	v_add_f16_e32 v4, v42, v4
	v_lshrrev_b32_e32 v61, 16, v45
	v_fma_f16 v42, v38, 0x3722, -v43
	v_fmac_f16_e32 v43, 0x3722, v38
	v_fmamk_f16 v53, v52, 0x3722, v51
	v_pk_add_f16 v41, v13, v14
	v_mul_f16_e32 v56, 0xbbb2, v61
	v_add_f16_e32 v5, v42, v5
	v_add_f16_e32 v26, v43, v26
	v_fma_f16 v42, v52, 0x3722, -v51
	v_pk_add_f16 v43, v15, v12 neg_lo:[0,1] neg_hi:[0,1]
	v_add_f16_e32 v27, v53, v27
	v_fma_f16 v51, v41, 0xb461, -v56
	v_lshrrev_b32_e32 v53, 16, v41
	v_mul_f16_e32 v54, 0xbbb2, v45
	v_add_f16_e32 v4, v42, v4
	v_lshrrev_b32_e32 v63, 16, v43
	v_pk_add_f16 v42, v12, v15
	v_add_f16_e32 v5, v51, v5
	v_fmamk_f16 v51, v53, 0xb461, v54
	v_fmac_f16_e32 v56, 0xb461, v41
	v_fma_f16 v64, v53, 0xb461, -v54
	v_mul_f16_e32 v65, 0x3bf7, v63
	v_lshrrev_b32_e32 v54, 16, v42
	v_mul_f16_e32 v66, 0x3bf7, v43
	v_add_f16_e32 v27, v51, v27
	v_add_f16_e32 v51, v56, v26
	;; [unrolled: 1-line block ×3, first 2 shown]
	v_fma_f16 v4, v42, 0x2de8, -v65
	v_fmamk_f16 v26, v54, 0x2de8, v66
	v_fmac_f16_e32 v65, 0x2de8, v42
	v_fma_f16 v64, v54, 0x2de8, -v66
	s_delay_alu instid0(VALU_DEP_4) | instskip(NEXT) | instid1(VALU_DEP_4)
	v_add_f16_e32 v4, v4, v5
	v_add_f16_e32 v26, v26, v27
	s_delay_alu instid0(VALU_DEP_4) | instskip(NEXT) | instid1(VALU_DEP_4)
	v_add_f16_e32 v5, v65, v51
	v_add_f16_e32 v27, v64, v56
	v_cmpx_gt_u32_e32 18, v0
	s_cbranch_execz .LBB0_12
; %bb.11:
	v_mul_f16_e32 v84, 0xb836, v37
	v_mul_f16_e32 v80, 0x3b29, v39
	;; [unrolled: 1-line block ×5, first 2 shown]
	v_fmamk_f16 v51, v48, 0xbacd, v84
	v_fmamk_f16 v56, v47, 0x3722, v80
	v_mul_f16_e32 v77, 0x3b29, v58
	v_fmamk_f16 v65, v46, 0x2de8, v72
	v_mul_f16_e32 v68, 0xb5c8, v40
	v_add_f16_e32 v51, v32, v51
	v_mul_f16_e32 v76, 0xbbf7, v57
	v_fmamk_f16 v73, v49, 0xb8d2, v71
	v_fma_f16 v75, v31, 0x3722, -v77
	v_mul_f16_e32 v67, 0xb1e1, v44
	v_add_f16_e32 v51, v56, v51
	v_fma_f16 v56, v33, 0xbacd, -v82
	v_mul_f16_e32 v74, 0x3a62, v55
	v_fmamk_f16 v78, v50, 0x3b76, v68
	v_mul_f16_e32 v66, 0x3964, v45
	v_add_f16_e32 v51, v65, v51
	v_add_f16_e32 v56, v28, v56
	v_mul_f16_e32 v69, 0xb5c8, v60
	v_mul_f16_e32 v64, 0xbbb2, v43
	;; [unrolled: 1-line block ×3, first 2 shown]
	v_add_f16_e32 v51, v73, v51
	v_fma_f16 v73, v29, 0x2de8, -v76
	v_add_f16_e32 v56, v75, v56
	v_fmamk_f16 v75, v52, 0xbbdd, v67
	v_mul_f16_e32 v81, 0xba62, v37
	v_add_f16_e32 v51, v78, v51
	v_fma_f16 v78, v30, 0xb8d2, -v74
	v_add_f16_e32 v56, v73, v56
	v_fmamk_f16 v73, v53, 0x39e9, v66
	v_fma_f16 v79, v34, 0x3b76, -v69
	v_add_f16_e32 v51, v75, v51
	v_mul_f16_e32 v65, 0x3964, v61
	v_add_f16_e32 v56, v78, v56
	v_fmamk_f16 v75, v54, 0xb461, v64
	v_fmamk_f16 v78, v48, 0xb8d2, v81
	v_add_f16_e32 v51, v73, v51
	v_mul_f16_e32 v86, 0x3bb2, v39
	v_fma_f16 v73, v38, 0xbbdd, -v70
	v_add_f16_e32 v56, v79, v56
	v_add_f16_e32 v78, v32, v78
	;; [unrolled: 1-line block ×3, first 2 shown]
	v_fmamk_f16 v79, v47, 0xb461, v86
	v_mul_f16_e32 v75, 0xb5c8, v35
	v_add_f16_e32 v56, v73, v56
	v_fma_f16 v83, v41, 0x39e9, -v65
	v_mul_f16_e32 v91, 0xba62, v59
	v_add_f16_e32 v78, v79, v78
	v_fmamk_f16 v85, v46, 0x3b76, v75
	v_mul_f16_e32 v90, 0xb836, v36
	v_add_f16_e32 v56, v83, v56
	v_fma_f16 v83, v33, 0xb8d2, -v91
	v_mul_f16_e32 v79, 0x3bb2, v58
	v_add_f16_e32 v87, v85, v78
	;; [unrolled: 6-line block ×4, first 2 shown]
	v_fmamk_f16 v94, v52, 0x39e9, v83
	v_mul_f16_e32 v87, 0xb1e1, v45
	v_add_f16_e32 v92, v92, v89
	v_fma_f16 v95, v30, 0xbacd, -v88
	v_mul_f16_e32 v89, 0x3bf7, v60
	v_mul_f16_e32 v73, 0xbbb2, v63
	v_add_f16_e32 v93, v94, v93
	v_fmamk_f16 v94, v53, 0xbbdd, v87
	v_add_f16_e32 v92, v95, v92
	v_fma_f16 v95, v34, 0x2de8, -v89
	v_mul_f16_e32 v97, 0xb964, v62
	v_fma_f16 v96, v42, 0xb461, -v73
	v_mul_f16_e32 v98, 0x3b29, v43
	v_add_f16_e32 v93, v94, v93
	v_add_f16_e32 v92, v95, v92
	v_fma_f16 v94, v38, 0x39e9, -v97
	v_mul_f16_e32 v99, 0xb1e1, v61
	v_pk_add_f16 v20, v28, v20
	v_mul_f16_e32 v100, 0xbbb2, v37
	v_add_f16_e32 v56, v96, v56
	v_fmamk_f16 v95, v54, 0x3722, v98
	v_add_f16_e32 v92, v94, v92
	v_fma_f16 v94, v41, 0xbbdd, -v99
	v_pk_add_f16 v21, v20, v21
	v_fmamk_f16 v96, v48, 0xb461, v100
	v_mul_f16_e32 v101, 0x3836, v39
	v_add_f16_e32 v20, v95, v93
	v_add_f16_e32 v93, v94, v92
	v_pk_add_f16 v18, v21, v18
	v_add_f16_e32 v21, v32, v96
	v_fmamk_f16 v94, v47, 0xbacd, v101
	v_mul_f16_e32 v102, 0x3964, v35
	v_mul_f16_e32 v104, 0xbbb2, v59
	v_pk_add_f16 v92, v18, v19
	v_mul_f16_e32 v105, 0xbb29, v36
	v_add_f16_e32 v18, v94, v21
	v_fmamk_f16 v19, v46, 0x39e9, v102
	v_fma_f16 v94, v33, 0xb461, -v104
	v_mul_f16_e32 v106, 0x3836, v58
	v_mul_f16_e32 v107, 0xb1e1, v40
	;; [unrolled: 1-line block ×3, first 2 shown]
	v_add_f16_e32 v18, v19, v18
	v_fmamk_f16 v19, v49, 0x3722, v105
	v_add_f16_e32 v94, v28, v94
	v_fma_f16 v95, v31, 0xbacd, -v106
	v_mul_f16_e32 v103, 0x3b29, v63
	v_mul_f16_e32 v109, 0x3bf7, v44
	v_add_f16_e32 v18, v19, v18
	v_fmamk_f16 v19, v50, 0xbbdd, v107
	v_add_f16_e32 v94, v95, v94
	v_fma_f16 v95, v29, 0x39e9, -v108
	v_mul_f16_e32 v110, 0xbb29, v55
	v_fma_f16 v21, v42, 0x3722, -v103
	v_add_f16_e32 v18, v19, v18
	v_fmamk_f16 v19, v52, 0x2de8, v109
	v_mul_f16_e32 v111, 0xb5c8, v45
	v_add_f16_e32 v94, v95, v94
	v_fma_f16 v95, v30, 0x3722, -v110
	v_mul_f16_e32 v112, 0xb1e1, v60
	v_add_f16_e32 v19, v19, v18
	v_fmamk_f16 v96, v53, 0x3b76, v111
	v_add_f16_e32 v18, v21, v93
	v_add_f16_e32 v21, v95, v94
	v_fma_f16 v93, v34, 0xbbdd, -v112
	v_mul_f16_e32 v113, 0x3bf7, v62
	v_mul_f16_e32 v114, 0xba62, v43
	;; [unrolled: 1-line block ×3, first 2 shown]
	v_add_f16_e32 v19, v96, v19
	v_add_f16_e32 v21, v93, v21
	v_fma_f16 v93, v38, 0x2de8, -v113
	v_mul_f16_e32 v116, 0xb5c8, v61
	v_fmamk_f16 v94, v54, 0xb8d2, v114
	v_fmamk_f16 v95, v48, 0x2de8, v115
	v_mul_f16_e32 v117, 0xb1e1, v39
	v_add_f16_e32 v21, v93, v21
	v_fma_f16 v93, v41, 0x3b76, -v116
	v_add_f16_e32 v19, v94, v19
	v_add_f16_e32 v94, v32, v95
	v_fmamk_f16 v95, v47, 0xbbdd, v117
	v_mul_f16_e32 v118, 0x3bb2, v35
	v_add_f16_e32 v21, v93, v21
	v_mul_f16_e32 v120, 0xbbf7, v59
	v_mul_f16_e32 v121, 0x35c8, v36
	v_add_f16_e32 v93, v95, v94
	v_fmamk_f16 v94, v46, 0xb461, v118
	v_mul_f16_e32 v122, 0xb1e1, v58
	v_fma_f16 v96, v33, 0x2de8, -v120
	v_mul_f16_e32 v123, 0xbb29, v40
	v_mul_f16_e32 v125, 0x3bb2, v57
	v_add_f16_e32 v93, v94, v93
	v_fmamk_f16 v94, v49, 0x3b76, v121
	v_add_f16_e32 v96, v28, v96
	v_fma_f16 v124, v31, 0xbbdd, -v122
	v_mul_f16_e32 v126, 0xb836, v44
	v_mul_f16_e32 v119, 0xba62, v63
	v_add_f16_e32 v93, v94, v93
	v_fmamk_f16 v94, v50, 0x3722, v123
	v_add_f16_e32 v96, v124, v96
	v_fma_f16 v124, v29, 0xb461, -v125
	v_mul_f16_e32 v127, 0x35c8, v55
	v_mul_f16_e64 v128, 0x3a62, v45
	v_add_f16_e32 v93, v94, v93
	v_fmamk_f16 v94, v52, 0xbacd, v126
	v_fma_f16 v95, v42, 0xb8d2, -v119
	v_add_f16_e32 v96, v124, v96
	v_fma_f16 v124, v30, 0x3b76, -v127
	v_mul_f16_e64 v129, 0xbb29, v60
	v_add_f16_e32 v93, v94, v93
	v_fma_f16 v94, 0xb8d2, v53, v128
	v_mul_f16_e64 v130, 0xbb29, v37
	v_add_f16_e32 v21, v95, v21
	v_add_f16_e32 v95, v124, v96
	v_fma_f16 v96, v34, 0x3722, -v129
	v_mul_f16_e32 v124, 0xb836, v62
	v_add_f16_e32 v93, v94, v93
	v_fma_f16 v94, 0x3722, v48, v130
	v_mul_f16_e64 v131, 0xba62, v39
	v_mul_f16_e64 v132, 0x3964, v43
	v_add_f16_e32 v95, v96, v95
	v_fma_f16 v96, v38, 0xbacd, -v124
	v_add_f16_e32 v94, v32, v94
	v_fma_f16 v133, 0xb8d2, v47, v131
	v_mul_f16_e64 v134, 0x31e1, v35
	v_mul_f16_e64 v135, 0x3a62, v61
	v_fma_f16 v136, 0x39e9, v54, v132
	v_add_f16_e32 v95, v96, v95
	v_add_f16_e64 v94, v133, v94
	v_fma_f16 v96, 0xbbdd, v46, v134
	v_mul_f16_e64 v133, 0x3bb2, v36
	v_fma_f16 v137, v41, 0xb8d2, -v135
	v_mul_f16_e64 v138, 0x3964, v63
	v_add_f16_e64 v93, v136, v93
	v_add_f16_e32 v94, v96, v94
	v_fma_f16 v96, 0xb461, v49, v133
	v_mul_f16_e64 v136, 0x3964, v40
	v_add_f16_e64 v95, v137, v95
	v_fma_f16 v137, v42, 0x39e9, -v138
	v_mul_f16_e64 v139, 0xbb29, v59
	v_add_f16_e32 v96, v96, v94
	v_fma_f16 v140, 0x39e9, v50, v136
	v_mul_f16_e64 v141, 0xb5c8, v44
	v_add_f16_e64 v94, v137, v95
	v_fma_f16 v95, v33, 0x3722, -v139
	v_mul_f16_e64 v137, 0xba62, v58
	v_add_f16_e64 v96, v140, v96
	v_fma_f16 v140, 0x3b76, v52, v141
	v_mul_f16_e64 v142, 0xbbf7, v45
	v_add_f16_e64 v143, v28, v95
	v_fma_f16 v144, v31, 0xb8d2, -v137
	v_mul_f16_e64 v145, 0x31e1, v57
	v_add_f16_e64 v96, v140, v96
	v_fma_f16 v140, 0x2de8, v53, v142
	v_mul_f16_e32 v95, 0xbacd, v54
	v_add_f16_e64 v143, v144, v143
	v_fma_f16 v144, v29, 0xbbdd, -v145
	v_mul_f16_e64 v146, 0x3bb2, v55
	v_add_f16_e64 v96, v140, v96
	v_fma_f16 v140, 0xb836, v43, v95
	v_mul_f16_e64 v147, 0xb964, v37
	v_add_f16_e64 v143, v144, v143
	v_fma_f16 v144, v30, 0xb461, -v146
	v_mul_f16_e64 v148, 0x3964, v60
	v_add_f16_e64 v96, v140, v96
	v_fma_f16 v140, 0x39e9, v48, v147
	v_mul_f16_e64 v149, 0xbbf7, v39
	;; [unrolled: 6-line block ×6, first 2 shown]
	v_add_f16_e64 v59, v144, v143
	v_fma_f16 v143, v33, 0x3b76, -v157
	v_mul_f16_e32 v58, 0xb964, v58
	v_add_f16_e64 v140, v151, v140
	v_fma_f16 v144, 0xb461, v52, v158
	v_mul_f16_e64 v151, 0x3b29, v45
	v_add_f16_e64 v143, v28, v143
	v_fma_f16 v159, v31, 0x39e9, -v58
	v_mul_f16_e32 v57, 0xbb29, v57
	v_add_f16_e64 v140, v144, v140
	v_fma_f16 v144, 0x3722, v53, v151
	v_mul_f16_e64 v160, 0x35c8, v43
	v_add_f16_e64 v143, v159, v143
	v_fma_f16 v159, v29, 0x3722, -v57
	v_mul_f16_e32 v55, 0xbbf7, v55
	v_fma_f16 v84, v48, 0xbacd, -v84
	v_add_f16_e64 v140, v144, v140
	v_fma_f16 v144, 0x3b76, v54, v160
	v_add_f16_e64 v143, v159, v143
	v_fma_f16 v159, v30, 0x2de8, -v55
	v_mul_f16_e32 v60, 0xbbb2, v60
	v_add_f16_e32 v84, v32, v84
	v_fma_f16 v80, v47, 0x3722, -v80
	v_add_f16_e64 v140, v144, v140
	v_add_f16_e64 v143, v159, v143
	v_fma_f16 v144, v34, 0xb461, -v60
	v_mul_f16_e32 v62, 0xba62, v62
	v_add_f16_e32 v80, v80, v84
	v_fma_f16 v72, v46, 0x2de8, -v72
	v_fmac_f16_e32 v82, 0xbacd, v33
	v_add_f16_e64 v84, v144, v143
	v_fma_f16 v143, v38, 0xb8d2, -v62
	v_fma_f16 v71, v49, 0xb8d2, -v71
	v_add_f16_e32 v72, v72, v80
	v_mul_f16_e32 v61, 0xb836, v61
	v_add_f16_e32 v82, v28, v82
	v_fmac_f16_e32 v77, 0x3722, v31
	v_add_f16_e64 v80, v143, v84
	v_add_f16_e32 v71, v71, v72
	v_fma_f16 v68, v50, 0x3b76, -v68
	v_fma_f16 v72, v41, 0xbacd, -v61
	v_mul_f16_e32 v63, 0xb1e1, v63
	v_add_f16_e32 v77, v77, v82
	v_fmac_f16_e32 v76, 0x2de8, v29
	v_add_f16_e32 v68, v68, v71
	v_fma_f16 v67, v52, 0xbbdd, -v67
	v_add_f16_e32 v71, v72, v80
	v_fma_f16 v72, v42, 0xbbdd, -v63
	v_add_f16_e32 v76, v76, v77
	v_fmac_f16_e32 v74, 0xb8d2, v30
	v_add_f16_e32 v67, v67, v68
	v_fma_f16 v66, v53, 0x39e9, -v66
	v_add_f16_e32 v68, v72, v71
	v_fma_f16 v71, v48, 0xb8d2, -v81
	;; [unrolled: 6-line block ×3, first 2 shown]
	v_add_f16_e32 v69, v69, v74
	v_fmac_f16_e32 v70, 0xbbdd, v38
	v_add_f16_e32 v64, v64, v66
	v_fmac_f16_e32 v65, 0x39e9, v41
	v_add_f16_e32 v66, v71, v67
	v_fma_f16 v67, v46, 0x3b76, -v75
	v_add_f16_e32 v69, v70, v69
	v_fma_f16 v70, v48, 0xb461, -v100
	v_fma_f16 v71, v47, 0xbacd, -v101
	v_fmac_f16_e32 v73, 0xb461, v42
	v_add_f16_e32 v66, v67, v66
	v_fma_f16 v67, v49, 0xbacd, -v90
	v_add_f16_e32 v70, v32, v70
	v_add_f16_e32 v65, v65, v69
	v_fma_f16 v72, v48, 0x2de8, -v115
	v_fma_f16 v74, v48, 0x3722, -v130
	v_add_f16_e32 v66, v67, v66
	v_fma_f16 v67, v50, 0x2de8, -v78
	v_add_f16_e32 v70, v71, v70
	;; [unrolled: 2-line block ×3, first 2 shown]
	v_add_f16_e32 v72, v32, v72
	v_add_f16_e32 v66, v67, v66
	v_fma_f16 v67, v52, 0x39e9, -v83
	v_add_f16_e32 v70, v71, v70
	v_fma_f16 v71, v49, 0x3722, -v105
	v_fma_f16 v73, v47, 0xbbdd, -v117
	v_add_f16_e32 v74, v32, v74
	v_add_f16_e32 v66, v67, v66
	v_fma_f16 v67, v53, 0xbbdd, -v87
	v_add_f16_e32 v70, v71, v70
	v_fma_f16 v71, v50, 0xbbdd, -v107
	v_fma_f16 v75, v47, 0xb8d2, -v131
	;; [unrolled: 1-line block ×3, first 2 shown]
	v_add_f16_e32 v66, v67, v66
	v_fma_f16 v67, v54, 0x3722, -v98
	v_fma_f16 v47, v47, 0x2de8, -v149
	;; [unrolled: 1-line block ×3, first 2 shown]
	v_add_f16_e32 v48, v32, v48
	v_pk_add_f16 v16, v92, v16
	v_add_f16_e32 v66, v67, v66
	v_add_f16_e32 v67, v71, v70
	v_fma_f16 v70, v52, 0x2de8, -v109
	v_add_f16_e32 v47, v47, v48
	v_pk_mul_f16 v48, 0x3b7639e9, v33
	v_pk_mul_f16 v76, 0x39e92de8, v31
	v_pk_add_f16 v16, v16, v17
	v_add_f16_e32 v67, v70, v67
	v_fma_f16 v70, v53, 0x3b76, -v111
	v_fmac_f16_e32 v91, 0xb8d2, v33
	v_pk_mul_f16 v77, 0x3722b8d2, v29
	v_pk_fma_f16 v80, 0xbbf7b964, v39, v76 op_sel:[0,0,1] op_sel_hi:[1,1,0]
	v_pk_fma_f16 v39, 0xbbf7b964, v39, v76 op_sel:[0,0,1] op_sel_hi:[1,1,0] neg_lo:[0,1,0] neg_hi:[0,1,0]
	v_add_f16_e32 v67, v70, v67
	v_fma_f16 v70, v54, 0xb8d2, -v114
	v_fmac_f16_e64 v157, 0x3b76, v33
	v_pk_add_f16 v14, v16, v14
	v_add_f16_e32 v69, v28, v91
	v_fmac_f16_e32 v79, 0xb461, v31
	v_add_f16_e32 v67, v70, v67
	v_add_f16_e32 v70, v73, v72
	v_fma_f16 v72, v46, 0xb461, -v118
	v_fmac_f16_e32 v104, 0xb461, v33
	v_fmac_f16_e32 v120, 0x2de8, v33
	v_fmac_f16_e64 v139, 0x3722, v33
	v_pk_fma_f16 v82, 0xba62bb29, v35, v77 op_sel:[0,0,1] op_sel_hi:[1,1,0]
	v_add_f16_e32 v70, v72, v70
	v_fma_f16 v72, v49, 0x3b76, -v121
	v_pk_fma_f16 v35, 0xba62bb29, v35, v77 op_sel:[0,0,1] op_sel_hi:[1,1,0] neg_lo:[0,1,0] neg_hi:[0,1,0]
	v_fmac_f16_e32 v58, 0x39e9, v31
	v_pk_add_f16 v14, v14, v15
	v_add_f16_e32 v69, v79, v69
	v_add_f16_e32 v70, v72, v70
	v_fma_f16 v72, v50, 0x3722, -v123
	v_add_f16_e32 v71, v28, v104
	v_fmac_f16_e32 v106, 0xbacd, v31
	v_add_f16_e32 v73, v28, v120
	v_fmac_f16_e32 v122, 0xbbdd, v31
	v_add_f16_e32 v70, v72, v70
	v_fma_f16 v72, v52, 0xbacd, -v126
	v_fmac_f16_e64 v137, 0xb8d2, v31
	v_pk_mul_f16 v79, 0xb461bacd, v34
	v_fmac_f16_e32 v57, 0x3722, v29
	v_pk_add_f16 v12, v14, v12
	v_add_f16_e32 v70, v72, v70
	v_fma_f16 v72, v53, 0xb8d2, -v128
	v_pk_mul_f16 v81, 0xb8d2b461, v38
	v_pk_fma_f16 v17, 0x3836bbb2, v40, v79 op_sel:[0,0,1] op_sel_hi:[1,1,0] neg_lo:[0,1,0] neg_hi:[0,1,0]
	v_fmac_f16_e32 v55, 0x2de8, v30
	v_pk_add_f16 v12, v12, v13
	v_add_f16_e32 v70, v72, v70
	v_fma_f16 v72, v54, 0x39e9, -v132
	v_fmac_f16_e32 v85, 0x3b76, v29
	v_pk_mul_f16 v83, 0xbacd3722, v41
	v_fma_f16 v54, v54, 0x3b76, -v160
	v_pk_fma_f16 v87, 0x3bb2ba62, v44, v81 op_sel:[0,0,1] op_sel_hi:[1,1,0]
	v_add_f16_e32 v70, v72, v70
	v_add_f16_e32 v72, v75, v74
	v_fma_f16 v74, v46, 0xbbdd, -v134
	v_fma_f16 v46, v46, 0xb8d2, -v152
	v_add_f16_e64 v75, v28, v139
	v_fmac_f16_e32 v60, 0xb461, v34
	v_pk_add_f16 v10, v12, v10
	v_add_f16_e32 v72, v74, v72
	v_fma_f16 v74, v49, 0xb461, -v133
	v_add_f16_e32 v46, v46, v47
	v_fma_f16 v49, v49, 0xbbdd, -v154
	v_pk_mul_f16 v47, 0x2de8bbdd, v30
	v_add_f16_e32 v73, v122, v73
	v_add_f16_e32 v72, v74, v72
	v_fmac_f16_e32 v125, 0xb461, v29
	v_add_f16_e32 v46, v49, v46
	v_fma_f16 v49, v50, 0xbacd, -v156
	v_pk_fma_f16 v84, 0xb1e1bbf7, v36, v47 op_sel:[0,0,1] op_sel_hi:[1,1,0]
	v_add_f16_e32 v72, v78, v72
	v_pk_fma_f16 v78, 0xb964b5c8, v37, v48 op_sel:[0,0,1] op_sel_hi:[1,1,0]
	v_pk_fma_f16 v37, 0xb964b5c8, v37, v48 op_sel:[0,0,1] op_sel_hi:[1,1,0] neg_lo:[0,1,0] neg_hi:[0,1,0]
	v_add_f16_e32 v46, v49, v46
	v_fma_f16 v49, v52, 0xb461, -v158
	v_pk_fma_f16 v36, 0xb1e1bbf7, v36, v47 op_sel:[0,0,1] op_sel_hi:[1,1,0] neg_lo:[0,1,0] neg_hi:[0,1,0]
	v_pk_add_f16 v50, v28, v78 op_sel:[1,0] op_sel_hi:[0,1]
	v_bfi_b32 v16, 0xffff, v78, v37
	v_add_f16_e32 v32, v32, v37
	v_add_f16_e64 v37, v28, v157
	v_add_f16_e32 v46, v49, v46
	v_pk_add_f16 v50, v80, v50
	v_pk_add_f16 v15, v28, v16 op_sel:[1,0] op_sel_hi:[0,1]
	v_bfi_b32 v16, 0xffff, v80, v39
	v_fma_f16 v49, v53, 0x3722, -v151
	v_add_f16_e32 v28, v39, v32
	v_pk_add_f16 v50, v82, v50
	v_add_f16_e32 v31, v58, v37
	v_pk_add_f16 v14, v16, v15
	v_bfi_b32 v15, 0xffff, v82, v35
	v_add_f16_e32 v46, v49, v46
	v_pk_add_f16 v49, v84, v50
	v_pk_fma_f16 v50, 0x3836bbb2, v40, v79 op_sel:[0,0,1] op_sel_hi:[1,1,0]
	v_add_f16_e32 v16, v35, v28
	v_add_f16_e32 v28, v57, v31
	v_pk_add_f16 v13, v15, v14
	v_bfi_b32 v14, 0xffff, v84, v36
	v_pk_fma_f16 v40, 0x3bb2ba62, v44, v81 op_sel:[0,0,1] op_sel_hi:[1,1,0] neg_lo:[0,1,0] neg_hi:[0,1,0]
	v_add_f16_e32 v15, v36, v16
	v_add_f16_e32 v16, v55, v28
	;; [unrolled: 1-line block ×3, first 2 shown]
	v_pk_add_f16 v12, v14, v13
	v_bfi_b32 v13, 0xffff, v50, v17
	v_fmac_f16_e32 v108, 0x39e9, v29
	v_add_f16_e32 v69, v85, v69
	v_add_f16_e64 v75, v137, v75
	v_fmac_f16_e64 v145, 0xbbdd, v29
	v_pk_mul_f16 v85, 0xbbdd3b76, v42
	v_add_f16_e32 v46, v54, v46
	v_pk_fma_f16 v54, 0x3b29b836, v45, v83 op_sel:[0,0,1] op_sel_hi:[1,1,0]
	v_pk_fma_f16 v33, 0x3b29b836, v45, v83 op_sel:[0,0,1] op_sel_hi:[1,1,0] neg_lo:[0,1,0] neg_hi:[0,1,0]
	v_add_f16_e32 v14, v17, v15
	v_add_f16_e32 v15, v60, v16
	v_fmac_f16_e32 v62, 0xb8d2, v38
	v_pk_add_f16 v10, v10, v11
	v_pk_add_f16 v11, v13, v12
	v_bfi_b32 v12, 0xffff, v87, v40
	v_add_f16_e32 v73, v125, v73
	v_fmac_f16_e32 v127, 0x3b76, v30
	v_fmac_f16_e32 v88, 0xbacd, v30
	v_add_f16_e32 v71, v108, v71
	v_fmac_f16_e32 v110, 0x3722, v30
	v_add_f16_e64 v74, v145, v75
	v_fmac_f16_e64 v146, 0xb461, v30
	v_pk_add_f16 v49, v50, v49
	v_pk_fma_f16 v13, 0x35c8b1e1, v43, v85 op_sel:[0,0,1] op_sel_hi:[1,1,0] neg_lo:[0,1,0] neg_hi:[0,1,0]
	v_add_f16_e32 v15, v62, v15
	v_pk_add_f16 v8, v10, v8
	v_pk_add_f16 v10, v12, v11
	v_bfi_b32 v11, 0xffff, v54, v33
	v_pk_fma_f16 v12, 0x35c8b1e1, v43, v85 op_sel:[0,0,1] op_sel_hi:[1,1,0]
	v_fmac_f16_e32 v61, 0xbacd, v41
	v_add_f16_e32 v73, v127, v73
	v_fmac_f16_e64 v129, 0x3722, v34
	v_add_f16_e32 v69, v88, v69
	v_fmac_f16_e32 v89, 0x2de8, v34
	v_add_f16_e32 v71, v110, v71
	v_fmac_f16_e32 v112, 0xbbdd, v34
	v_mul_f16_e32 v75, 0xb836, v43
	v_add_f16_e64 v74, v146, v74
	v_fmac_f16_e64 v148, 0x39e9, v34
	v_fma_f16 v52, v52, 0x3b76, -v141
	v_pk_add_f16 v49, v87, v49
	v_pk_add_f16 v8, v8, v9
	;; [unrolled: 1-line block ×3, first 2 shown]
	v_bfi_b32 v10, 0xffff, v12, v13
	v_add_f16_e32 v11, v61, v15
	v_fmac_f16_e32 v63, 0xbbdd, v42
	v_mul_u32_u24_e32 v12, 0x44, v0
	v_add_f16_e64 v73, v129, v73
	v_fmac_f16_e32 v124, 0xbacd, v38
	v_add_f16_e32 v69, v89, v69
	v_fmac_f16_e32 v97, 0x39e9, v38
	v_add_f16_e32 v71, v112, v71
	v_fmac_f16_e32 v113, 0x2de8, v38
	v_add_f16_e64 v74, v148, v74
	v_fmac_f16_e64 v150, 0x3b76, v38
	v_pk_mul_f16 v86, 0x35c8b1e1, v43
	v_add_f16_e32 v52, v52, v72
	v_fma_f16 v53, v53, 0x2de8, -v142
	v_pk_add_f16 v6, v8, v6
	v_pk_add_f16 v8, v10, v9
	v_add_f16_e32 v10, v63, v11
	v_add3_u32 v11, 0, v12, v25
	v_bfi_b32 v12, 0xffff, v75, v49
	v_add_f16_e32 v14, v40, v14
	v_add_f16_e32 v73, v124, v73
	v_fmac_f16_e64 v135, 0xb8d2, v41
	v_add_f16_e32 v69, v97, v69
	v_fmac_f16_e32 v99, 0xbbdd, v41
	v_add_f16_e32 v71, v113, v71
	v_fmac_f16_e32 v116, 0x3b76, v41
	v_add_f16_e64 v74, v150, v74
	v_fmac_f16_e64 v153, 0x2de8, v41
	v_pack_b32_f16 v15, v18, v20
	v_pk_add_f16 v12, v95, v12 neg_lo:[0,1] neg_hi:[0,1]
	v_pk_add_f16 v16, v54, v49
	v_pack_b32_f16 v17, v53, v85
	v_bfi_b32 v18, 0xffff, v52, v86
	v_add_f16_e32 v14, v33, v14
	v_add_f16_e64 v73, v135, v73
	v_fmac_f16_e64 v138, 0x39e9, v42
	v_add_f16_e32 v69, v99, v69
	v_fmac_f16_e32 v103, 0x3722, v42
	v_add_f16_e32 v71, v116, v71
	v_fmac_f16_e32 v119, 0xb8d2, v42
	v_add_f16_e64 v74, v153, v74
	v_fmac_f16_e64 v155, 0xbacd, v42
	v_pk_add_f16 v6, v6, v7
	v_alignbit_b32 v7, v140, v8, 16
	v_pack_b32_f16 v8, v68, v8
	v_bfi_b32 v12, 0xffff, v12, v16
	v_pk_add_f16 v16, v17, v18
	v_add_f16_e32 v9, v13, v14
	v_pack_b32_f16 v13, v94, v93
	v_pack_b32_f16 v14, v59, v96
	v_add_f16_e64 v73, v138, v73
	v_pack_b32_f16 v19, v21, v19
	v_pack_b32_f16 v20, v56, v51
	v_perm_b32 v21, v26, v4, 0x5040100
	v_add_f16_e32 v69, v103, v69
	v_add_f16_e32 v71, v119, v71
	v_add_f16_e64 v72, v155, v74
	ds_store_2addr_b32 v11, v8, v7 offset0:1 offset1:2
	ds_store_2addr_b32 v11, v14, v13 offset0:3 offset1:4
	;; [unrolled: 1-line block ×4, first 2 shown]
	v_pk_add_f16 v8, v12, v16
	v_pack_b32_f16 v14, v73, v70
	v_pack_b32_f16 v7, v65, v64
	v_perm_b32 v12, v27, v5, 0x5040100
	v_pack_b32_f16 v13, v71, v67
	v_pack_b32_f16 v15, v69, v66
	v_alignbit_b32 v16, v46, v8, 16
	v_pack_b32_f16 v8, v72, v8
	v_pack_b32_f16 v9, v10, v9
	ds_store_2addr_b32 v11, v6, v14 offset1:13
	ds_store_2addr_b32 v11, v12, v7 offset0:9 offset1:10
	ds_store_2addr_b32 v11, v15, v13 offset0:11 offset1:12
	;; [unrolled: 1-line block ×3, first 2 shown]
	ds_store_b32 v11, v9 offset:64
.LBB0_12:
	s_wait_alu 0xfffe
	s_or_b32 exec_lo, exec_lo, s1
	global_wb scope:SCOPE_SE
	s_wait_dscnt 0x0
	s_barrier_signal -1
	s_barrier_wait -1
	global_inv scope:SCOPE_SE
	ds_load_2addr_b32 v[6:7], v24 offset0:102 offset1:153
	ds_load_2addr_b32 v[8:9], v24 offset0:34 offset1:68
	;; [unrolled: 1-line block ×3, first 2 shown]
	ds_load_b32 v14, v22
	ds_load_b32 v15, v24 offset:1020
	v_cmp_gt_u32_e64 s0, 17, v0
	s_delay_alu instid0(VALU_DEP_1)
	s_and_saveexec_b32 s1, s0
	s_cbranch_execz .LBB0_14
; %bb.13:
	v_add_nc_u32_e32 v4, 0x200, v24
	ds_load_2addr_b32 v[4:5], v4 offset0:8 offset1:161
	s_wait_dscnt 0x0
	v_lshrrev_b32_e32 v26, 16, v4
	v_lshrrev_b32_e32 v27, 16, v5
.LBB0_14:
	s_wait_alu 0xfffe
	s_or_b32 exec_lo, exec_lo, s1
	v_add_nc_u16 v10, v0, 34
	v_add_nc_u16 v16, v0, 0x44
	;; [unrolled: 1-line block ×3, first 2 shown]
	v_subrev_nc_u32_e32 v30, 17, v0
	s_delay_alu instid0(VALU_DEP_4) | instskip(NEXT) | instid1(VALU_DEP_4)
	v_and_b32_e32 v11, 0xff, v10
	v_and_b32_e32 v18, 0xff, v16
	s_delay_alu instid0(VALU_DEP_4) | instskip(NEXT) | instid1(VALU_DEP_3)
	v_and_b32_e32 v19, 0xff, v17
	v_mul_lo_u16 v11, 0xf1, v11
	s_delay_alu instid0(VALU_DEP_2) | instskip(NEXT) | instid1(VALU_DEP_2)
	v_mul_lo_u16 v19, 0xf1, v19
	v_lshrrev_b16 v20, 12, v11
	v_mov_b32_e32 v11, 0
	v_mul_lo_u16 v18, 0xf1, v18
	s_delay_alu instid0(VALU_DEP_4) | instskip(NEXT) | instid1(VALU_DEP_4)
	v_lshrrev_b16 v19, 12, v19
	v_mul_lo_u16 v21, v20, 17
	v_and_b32_e32 v20, 0xffff, v20
	s_delay_alu instid0(VALU_DEP_4) | instskip(NEXT) | instid1(VALU_DEP_4)
	v_lshrrev_b16 v18, 12, v18
	v_mul_lo_u16 v29, v19, 17
	v_and_b32_e32 v19, 0xffff, v19
	v_sub_nc_u16 v21, v10, v21
	v_cndmask_b32_e64 v10, v30, v0, s0
	v_mul_lo_u16 v28, v18, 17
	v_sub_nc_u16 v17, v17, v29
	v_and_b32_e32 v18, 0xffff, v18
	v_and_b32_e32 v21, 0xff, v21
	v_mad_u32_u24 v20, 0x88, v20, 0
	v_sub_nc_u16 v16, v16, v28
	v_and_b32_e32 v29, 0xff, v17
	v_mad_u32_u24 v18, 0x88, v18, 0
	v_lshlrev_b32_e32 v21, 2, v21
	s_delay_alu instid0(VALU_DEP_4) | instskip(SKIP_3) | instid1(VALU_DEP_4)
	v_and_b32_e32 v28, 0xff, v16
	v_lshlrev_b64_e32 v[16:17], 2, v[10:11]
	v_lshlrev_b32_e32 v29, 2, v29
	v_lshlrev_b32_e32 v10, 2, v10
	;; [unrolled: 1-line block ×3, first 2 shown]
	s_delay_alu instid0(VALU_DEP_4)
	v_add_co_u32 v16, s1, s4, v16
	s_wait_alu 0xf1ff
	v_add_co_ci_u32_e64 v17, s1, s5, v17, s1
	s_clause 0x3
	global_load_b32 v30, v29, s[4:5]
	global_load_b32 v31, v28, s[4:5]
	;; [unrolled: 1-line block ×3, first 2 shown]
	global_load_b32 v16, v[16:17], off
	v_cmp_lt_u32_e64 s1, 16, v0
	v_add3_u32 v18, v18, v28, v25
	global_wb scope:SCOPE_SE
	s_wait_loadcnt_dscnt 0x0
	s_barrier_signal -1
	s_barrier_wait -1
	s_wait_alu 0xf1ff
	v_cndmask_b32_e64 v17, 0, 0x88, s1
	global_inv scope:SCOPE_SE
	v_add_nc_u32_e32 v17, 0, v17
	s_delay_alu instid0(VALU_DEP_1) | instskip(SKIP_2) | instid1(VALU_DEP_2)
	v_add3_u32 v10, v17, v10, v25
	v_mad_u32_u24 v17, 0x88, v19, 0
	v_add3_u32 v19, v20, v21, v25
	v_add3_u32 v17, v17, v29, v25
	v_pk_mul_f16 v20, v30, v15 op_sel:[0,1]
	v_pk_mul_f16 v21, v31, v13 op_sel:[0,1]
	;; [unrolled: 1-line block ×4, first 2 shown]
	s_delay_alu instid0(VALU_DEP_4) | instskip(NEXT) | instid1(VALU_DEP_4)
	v_pk_fma_f16 v29, v30, v15, v20 op_sel:[0,0,1] op_sel_hi:[1,1,0] neg_lo:[0,0,1] neg_hi:[0,0,1]
	v_pk_fma_f16 v34, v31, v13, v21 op_sel:[0,0,1] op_sel_hi:[1,1,0] neg_lo:[0,0,1] neg_hi:[0,0,1]
	s_delay_alu instid0(VALU_DEP_4) | instskip(NEXT) | instid1(VALU_DEP_4)
	v_pk_fma_f16 v35, v32, v12, v28 op_sel:[0,0,1] op_sel_hi:[1,1,0] neg_lo:[0,0,1] neg_hi:[0,0,1]
	v_pk_fma_f16 v36, v16, v7, v33 op_sel:[0,0,1] op_sel_hi:[1,1,0] neg_lo:[0,0,1] neg_hi:[0,0,1]
	v_pk_fma_f16 v7, v16, v7, v33 op_sel:[0,0,1] op_sel_hi:[1,0,0]
	v_pk_fma_f16 v12, v32, v12, v28 op_sel:[0,0,1] op_sel_hi:[1,0,0]
	;; [unrolled: 1-line block ×4, first 2 shown]
	s_delay_alu instid0(VALU_DEP_4) | instskip(NEXT) | instid1(VALU_DEP_4)
	v_bfi_b32 v7, 0xffff, v36, v7
	v_bfi_b32 v12, 0xffff, v35, v12
	s_delay_alu instid0(VALU_DEP_4) | instskip(NEXT) | instid1(VALU_DEP_4)
	v_bfi_b32 v13, 0xffff, v34, v13
	v_bfi_b32 v15, 0xffff, v29, v15
	s_delay_alu instid0(VALU_DEP_4) | instskip(NEXT) | instid1(VALU_DEP_4)
	v_pk_add_f16 v7, v14, v7 neg_lo:[0,1] neg_hi:[0,1]
	v_pk_add_f16 v12, v8, v12 neg_lo:[0,1] neg_hi:[0,1]
	s_delay_alu instid0(VALU_DEP_4) | instskip(NEXT) | instid1(VALU_DEP_4)
	v_pk_add_f16 v13, v9, v13 neg_lo:[0,1] neg_hi:[0,1]
	v_pk_add_f16 v15, v6, v15 neg_lo:[0,1] neg_hi:[0,1]
	s_delay_alu instid0(VALU_DEP_4) | instskip(NEXT) | instid1(VALU_DEP_4)
	v_pk_fma_f16 v14, v14, 2.0, v7 op_sel_hi:[1,0,1] neg_lo:[0,0,1] neg_hi:[0,0,1]
	v_pk_fma_f16 v8, v8, 2.0, v12 op_sel_hi:[1,0,1] neg_lo:[0,0,1] neg_hi:[0,0,1]
	s_delay_alu instid0(VALU_DEP_4) | instskip(NEXT) | instid1(VALU_DEP_4)
	v_pk_fma_f16 v9, v9, 2.0, v13 op_sel_hi:[1,0,1] neg_lo:[0,0,1] neg_hi:[0,0,1]
	v_pk_fma_f16 v6, v6, 2.0, v15 op_sel_hi:[1,0,1] neg_lo:[0,0,1] neg_hi:[0,0,1]
	ds_store_2addr_b32 v10, v14, v7 offset1:17
	ds_store_2addr_b32 v19, v8, v12 offset1:17
	;; [unrolled: 1-line block ×4, first 2 shown]
	s_and_saveexec_b32 s1, s0
	s_cbranch_execz .LBB0_16
; %bb.15:
	v_add_nc_u16 v6, v0, 0x88
	s_delay_alu instid0(VALU_DEP_1) | instskip(NEXT) | instid1(VALU_DEP_1)
	v_and_b32_e32 v7, 0xff, v6
	v_mul_lo_u16 v7, 0xf1, v7
	s_delay_alu instid0(VALU_DEP_1) | instskip(NEXT) | instid1(VALU_DEP_1)
	v_lshrrev_b16 v7, 12, v7
	v_mul_lo_u16 v7, v7, 17
	s_delay_alu instid0(VALU_DEP_1) | instskip(NEXT) | instid1(VALU_DEP_1)
	v_sub_nc_u16 v6, v6, v7
	v_and_b32_e32 v6, 0xff, v6
	s_delay_alu instid0(VALU_DEP_1) | instskip(SKIP_2) | instid1(VALU_DEP_1)
	v_lshlrev_b32_e32 v6, 2, v6
	global_load_b32 v7, v6, s[4:5]
	v_add3_u32 v6, 0, v6, v25
	v_add_nc_u32_e32 v6, 0x400, v6
	s_wait_loadcnt 0x0
	v_lshrrev_b32_e32 v8, 16, v7
	s_delay_alu instid0(VALU_DEP_1) | instskip(SKIP_1) | instid1(VALU_DEP_2)
	v_mul_f16_e32 v9, v27, v8
	v_mul_f16_e32 v8, v5, v8
	v_fma_f16 v5, v5, v7, -v9
	s_delay_alu instid0(VALU_DEP_2) | instskip(NEXT) | instid1(VALU_DEP_2)
	v_fmac_f16_e32 v8, v27, v7
	v_sub_f16_e32 v5, v4, v5
	s_delay_alu instid0(VALU_DEP_2) | instskip(NEXT) | instid1(VALU_DEP_2)
	v_sub_f16_e32 v7, v26, v8
	v_fma_f16 v4, v4, 2.0, -v5
	s_delay_alu instid0(VALU_DEP_2) | instskip(SKIP_1) | instid1(VALU_DEP_2)
	v_fma_f16 v8, v26, 2.0, -v7
	v_pack_b32_f16 v5, v5, v7
	v_pack_b32_f16 v4, v4, v8
	ds_store_2addr_b32 v6, v4, v5 offset0:16 offset1:33
.LBB0_16:
	s_wait_alu 0xfffe
	s_or_b32 exec_lo, exec_lo, s1
	v_lshlrev_b32_e32 v10, 3, v0
	global_wb scope:SCOPE_SE
	s_wait_dscnt 0x0
	s_barrier_signal -1
	s_barrier_wait -1
	global_inv scope:SCOPE_SE
	v_lshlrev_b64_e32 v[4:5], 2, v[10:11]
	v_add_nc_u32_e32 v18, 0x200, v24
	s_mov_b32 s2, exec_lo
	s_delay_alu instid0(VALU_DEP_2) | instskip(SKIP_1) | instid1(VALU_DEP_3)
	v_add_co_u32 v8, s1, s4, v4
	s_wait_alu 0xf1ff
	v_add_co_ci_u32_e64 v9, s1, s5, v5, s1
	s_clause 0x1
	global_load_b128 v[4:7], v[8:9], off offset:68
	global_load_b128 v[8:11], v[8:9], off offset:84
	ds_load_2addr_b32 v[12:13], v24 offset0:170 offset1:204
	ds_load_2addr_b32 v[14:15], v24 offset0:34 offset1:68
	;; [unrolled: 1-line block ×3, first 2 shown]
	ds_load_b32 v20, v22
	ds_load_2addr_b32 v[18:19], v18 offset0:110 offset1:144
	global_wb scope:SCOPE_SE
	s_wait_loadcnt_dscnt 0x0
	s_barrier_signal -1
	s_barrier_wait -1
	global_inv scope:SCOPE_SE
	v_lshrrev_b32_e32 v27, 16, v16
	v_lshrrev_b32_e32 v25, 16, v14
	;; [unrolled: 1-line block ×17, first 2 shown]
	v_mul_f16_e32 v41, v33, v25
	v_mul_f16_e32 v33, v33, v14
	;; [unrolled: 1-line block ×16, first 2 shown]
	v_fma_f16 v14, v4, v14, -v41
	v_fmac_f16_e32 v33, v4, v25
	v_fma_f16 v4, v5, v15, -v42
	v_fmac_f16_e32 v34, v5, v26
	;; [unrolled: 2-line block ×4, first 2 shown]
	v_fma_f16 v7, v8, v12, -v45
	v_fma_f16 v12, v19, v11, -v48
	v_fmac_f16_e32 v40, v32, v11
	v_fma_f16 v11, v18, v10, -v47
	v_fmac_f16_e32 v39, v31, v10
	v_fmac_f16_e32 v37, v8, v29
	v_fma_f16 v8, v13, v9, -v46
	v_fmac_f16_e32 v38, v21, v9
	v_add_f16_e32 v9, v14, v12
	v_add_f16_e32 v10, v33, v40
	;; [unrolled: 1-line block ×4, first 2 shown]
	v_sub_f16_e32 v12, v14, v12
	v_sub_f16_e32 v18, v6, v7
	v_add_f16_e32 v16, v5, v8
	v_add_f16_e32 v17, v35, v38
	v_sub_f16_e32 v4, v4, v11
	v_add_f16_e32 v21, v6, v7
	v_add_f16_e32 v25, v36, v37
	v_mul_f16_e32 v26, 0x3924, v12
	v_mul_f16_e32 v31, 0xb924, v18
	v_add_f16_e32 v41, v13, v9
	v_add_f16_e32 v42, v15, v10
	v_mul_f16_e32 v43, 0x3be1, v18
	v_sub_f16_e32 v5, v5, v8
	v_fmac_f16_e32 v26, 0x3be1, v4
	v_fmac_f16_e32 v31, 0x3be1, v12
	v_add_f16_e32 v45, v21, v41
	v_add_f16_e32 v46, v25, v42
	v_fma_f16 v43, v4, 0xb924, -v43
	v_add_f16_e32 v41, v16, v41
	v_add_f16_e32 v42, v17, v42
	v_sub_f16_e32 v8, v35, v38
	v_add_f16_e32 v35, v18, v12
	v_fmac_f16_e32 v26, 0x3aee, v5
	v_fmac_f16_e32 v31, 0xbaee, v5
	v_fmac_f16_e32 v43, 0x3aee, v5
	v_add_f16_e32 v5, v6, v41
	v_add_f16_e32 v6, v36, v42
	v_sub_f16_e32 v19, v36, v37
	v_sub_f16_e32 v14, v33, v40
	;; [unrolled: 1-line block ×3, first 2 shown]
	v_fmac_f16_e32 v31, 0x3579, v4
	v_add_f16_e32 v4, v7, v5
	v_add_f16_e32 v5, v37, v6
	v_sub_f16_e32 v11, v34, v39
	v_mul_f16_e32 v32, 0xb924, v19
	v_fmamk_f16 v33, v21, 0x3a21, v20
	v_fmamk_f16 v34, v25, 0x3a21, v30
	v_mul_f16_e32 v27, 0x3924, v14
	v_fmamk_f16 v28, v9, 0x3a21, v20
	v_fmamk_f16 v29, v10, 0x3a21, v30
	v_add_f16_e32 v39, v16, v20
	v_add_f16_e32 v40, v17, v30
	v_mul_f16_e32 v44, 0x3be1, v19
	v_add_f16_e32 v4, v20, v4
	v_add_f16_e32 v5, v30, v5
	v_fmac_f16_e32 v20, 0x3a21, v13
	v_fmac_f16_e32 v30, 0x3a21, v15
	;; [unrolled: 1-line block ×8, first 2 shown]
	v_fma_f16 v44, v11, 0xb924, -v44
	v_fmac_f16_e32 v20, 0x318f, v21
	v_fmac_f16_e32 v30, 0x318f, v25
	v_add_f16_e32 v38, v19, v14
	v_fmac_f16_e32 v32, 0xbaee, v8
	v_fmac_f16_e32 v33, -0.5, v16
	v_fmac_f16_e32 v34, -0.5, v17
	v_fmac_f16_e32 v27, 0x3aee, v8
	v_fmac_f16_e32 v28, -0.5, v16
	v_fmac_f16_e32 v29, -0.5, v17
	;; [unrolled: 3-line block ×3, first 2 shown]
	v_sub_f16_e32 v38, v38, v11
	v_fmac_f16_e32 v39, -0.5, v45
	v_fmac_f16_e32 v40, -0.5, v46
	v_fmac_f16_e32 v32, 0x3579, v11
	v_fmac_f16_e32 v33, 0xbb84, v13
	;; [unrolled: 1-line block ×11, first 2 shown]
	v_mul_f16_e32 v47, 0x3aee, v35
	v_mul_f16_e32 v48, 0x3aee, v38
	v_fmac_f16_e32 v39, 0x3aee, v38
	v_fmac_f16_e32 v40, 0xbaee, v35
	v_add_f16_e32 v8, v32, v33
	v_sub_f16_e32 v11, v34, v31
	v_add_f16_e32 v6, v27, v28
	v_sub_f16_e32 v7, v29, v26
	;; [unrolled: 2-line block ×3, first 2 shown]
	v_fma_f16 v12, -2.0, v48, v39
	v_fma_f16 v13, 2.0, v47, v40
	v_fma_f16 v10, -2.0, v32, v8
	v_fma_f16 v16, 2.0, v31, v11
	;; [unrolled: 2-line block ×3, first 2 shown]
	v_pack_b32_f16 v4, v4, v5
	v_pack_b32_f16 v5, v6, v7
	v_pack_b32_f16 v6, v8, v11
	v_fma_f16 v7, -2.0, v44, v17
	v_fma_f16 v8, 2.0, v43, v18
	v_pack_b32_f16 v14, v39, v40
	v_pack_b32_f16 v11, v12, v13
	;; [unrolled: 1-line block ×6, first 2 shown]
	ds_store_2addr_b32 v24, v4, v5 offset1:34
	ds_store_2addr_b32 v24, v6, v14 offset0:68 offset1:102
	ds_store_2addr_b32 v24, v11, v10 offset0:204 offset1:238
	ds_store_b32 v24, v9 offset:1088
	ds_store_2addr_b32 v24, v12, v7 offset0:136 offset1:170
	global_wb scope:SCOPE_SE
	s_wait_dscnt 0x0
	s_barrier_signal -1
	s_barrier_wait -1
	global_inv scope:SCOPE_SE
	ds_load_b32 v6, v22
	v_sub_nc_u32_e32 v8, v1, v23
                                        ; implicit-def: $vgpr10
                                        ; implicit-def: $vgpr9
                                        ; implicit-def: $vgpr4_vgpr5
	s_wait_dscnt 0x0
	v_lshrrev_b32_e32 v7, 16, v6
	v_cmpx_ne_u32_e32 0, v0
	s_wait_alu 0xfffe
	s_xor_b32 s2, exec_lo, s2
	s_cbranch_execz .LBB0_18
; %bb.17:
	v_mov_b32_e32 v1, 0
	s_delay_alu instid0(VALU_DEP_1) | instskip(NEXT) | instid1(VALU_DEP_1)
	v_lshlrev_b64_e32 v[4:5], 2, v[0:1]
	v_add_co_u32 v4, s1, s4, v4
	s_wait_alu 0xf1ff
	s_delay_alu instid0(VALU_DEP_2)
	v_add_co_ci_u32_e64 v5, s1, s5, v5, s1
	global_load_b32 v4, v[4:5], off offset:1156
	ds_load_b32 v5, v8 offset:1224
	s_wait_dscnt 0x0
	v_lshrrev_b32_e32 v9, 16, v5
	v_sub_f16_e32 v10, v6, v5
	v_add_f16_e32 v5, v5, v6
	s_delay_alu instid0(VALU_DEP_3) | instskip(SKIP_1) | instid1(VALU_DEP_4)
	v_add_f16_e32 v11, v9, v7
	v_sub_f16_e32 v7, v7, v9
	v_mul_f16_e32 v10, 0.5, v10
	s_delay_alu instid0(VALU_DEP_3) | instskip(NEXT) | instid1(VALU_DEP_3)
	v_mul_f16_e32 v11, 0.5, v11
	v_mul_f16_e32 v7, 0.5, v7
	s_wait_loadcnt 0x0
	v_lshrrev_b32_e32 v9, 16, v4
	s_delay_alu instid0(VALU_DEP_1) | instskip(NEXT) | instid1(VALU_DEP_3)
	v_mul_f16_e32 v6, v9, v10
	v_fma_f16 v12, v11, v9, v7
	v_fma_f16 v7, v11, v9, -v7
	s_delay_alu instid0(VALU_DEP_3) | instskip(SKIP_1) | instid1(VALU_DEP_4)
	v_fma_f16 v9, 0.5, v5, v6
	v_fma_f16 v5, v5, 0.5, -v6
	v_fma_f16 v6, -v4, v10, v12
	s_delay_alu instid0(VALU_DEP_4)
	v_fma_f16 v7, -v4, v10, v7
	ds_store_b16 v22, v6 offset:2
	ds_store_b16 v8, v7 offset:1226
	v_fmac_f16_e32 v9, v4, v11
	v_fma_f16 v10, -v4, v11, v5
	v_dual_mov_b32 v5, v1 :: v_dual_mov_b32 v4, v0
                                        ; implicit-def: $vgpr7
                                        ; implicit-def: $vgpr6
                                        ; implicit-def: $vgpr1
.LBB0_18:
	s_wait_alu 0xfffe
	s_and_not1_saveexec_b32 s1, s2
	s_cbranch_execz .LBB0_20
; %bb.19:
	v_mov_b32_e32 v4, 0
	v_add_f16_e32 v9, v7, v6
	v_sub_f16_e32 v10, v6, v7
	ds_store_b16 v22, v4 offset:2
	ds_store_b16 v8, v4 offset:1226
	ds_load_u16 v4, v1 offset:614
	s_wait_dscnt 0x0
	v_xor_b32_e32 v11, 0x8000, v4
	v_mov_b32_e32 v4, 0
	v_mov_b32_e32 v5, 0
	ds_store_b16 v1, v11 offset:614
.LBB0_20:
	s_wait_alu 0xfffe
	s_or_b32 exec_lo, exec_lo, s1
	v_lshlrev_b64_e32 v[4:5], 2, v[4:5]
	s_add_nc_u64 s[2:3], s[4:5], 0x484
	s_wait_alu 0xfffe
	s_delay_alu instid0(VALU_DEP_1) | instskip(SKIP_1) | instid1(VALU_DEP_2)
	v_add_co_u32 v6, s1, s2, v4
	s_wait_alu 0xf1ff
	v_add_co_ci_u32_e64 v7, s1, s3, v5, s1
	s_clause 0x2
	global_load_b32 v1, v[6:7], off offset:136
	global_load_b32 v11, v[6:7], off offset:272
	;; [unrolled: 1-line block ×3, first 2 shown]
	ds_store_b16 v22, v9
	ds_store_b16 v8, v10 offset:1224
	ds_load_b32 v9, v22 offset:136
	ds_load_b32 v10, v8 offset:1088
	s_wait_dscnt 0x0
	v_pk_add_f16 v13, v9, v10 neg_lo:[0,1] neg_hi:[0,1]
	v_pk_add_f16 v9, v9, v10
	s_delay_alu instid0(VALU_DEP_1) | instskip(SKIP_1) | instid1(VALU_DEP_2)
	v_bfi_b32 v10, 0xffff, v13, v9
	v_bfi_b32 v9, 0xffff, v9, v13
	v_pk_mul_f16 v10, v10, 0.5 op_sel_hi:[1,0]
	s_delay_alu instid0(VALU_DEP_2) | instskip(SKIP_1) | instid1(VALU_DEP_1)
	v_pk_mul_f16 v9, v9, 0.5 op_sel_hi:[1,0]
	s_wait_loadcnt 0x2
	v_pk_fma_f16 v13, v1, v10, v9 op_sel:[1,0,0]
	v_pk_mul_f16 v14, v1, v10 op_sel_hi:[0,1]
	v_pk_fma_f16 v15, v1, v10, v9 op_sel:[1,0,0] neg_lo:[1,0,0] neg_hi:[1,0,0]
	v_pk_fma_f16 v1, v1, v10, v9 op_sel:[1,0,0] neg_lo:[0,0,1] neg_hi:[0,0,1]
	s_delay_alu instid0(VALU_DEP_3) | instskip(SKIP_1) | instid1(VALU_DEP_4)
	v_pk_add_f16 v9, v13, v14 op_sel:[0,1] op_sel_hi:[1,0]
	v_pk_add_f16 v10, v13, v14 op_sel:[0,1] op_sel_hi:[1,0] neg_lo:[0,1] neg_hi:[0,1]
	v_pk_add_f16 v13, v15, v14 op_sel:[0,1] op_sel_hi:[1,0] neg_lo:[0,1] neg_hi:[0,1]
	s_delay_alu instid0(VALU_DEP_4) | instskip(NEXT) | instid1(VALU_DEP_3)
	v_pk_add_f16 v1, v1, v14 op_sel:[0,1] op_sel_hi:[1,0] neg_lo:[0,1] neg_hi:[0,1]
	v_bfi_b32 v9, 0xffff, v9, v10
	s_delay_alu instid0(VALU_DEP_2)
	v_bfi_b32 v1, 0xffff, v13, v1
	ds_store_b32 v22, v9 offset:136
	ds_store_b32 v8, v1 offset:1088
	ds_load_b32 v1, v22 offset:272
	ds_load_b32 v9, v8 offset:952
	s_wait_dscnt 0x0
	v_pk_add_f16 v10, v1, v9 neg_lo:[0,1] neg_hi:[0,1]
	v_pk_add_f16 v1, v1, v9
	s_delay_alu instid0(VALU_DEP_1) | instskip(SKIP_1) | instid1(VALU_DEP_2)
	v_bfi_b32 v9, 0xffff, v10, v1
	v_bfi_b32 v1, 0xffff, v1, v10
	v_pk_mul_f16 v9, v9, 0.5 op_sel_hi:[1,0]
	s_delay_alu instid0(VALU_DEP_2) | instskip(SKIP_1) | instid1(VALU_DEP_2)
	v_pk_mul_f16 v1, v1, 0.5 op_sel_hi:[1,0]
	s_wait_loadcnt 0x1
	v_pk_mul_f16 v13, v11, v9 op_sel_hi:[0,1]
	s_delay_alu instid0(VALU_DEP_2) | instskip(SKIP_2) | instid1(VALU_DEP_3)
	v_pk_fma_f16 v10, v11, v9, v1 op_sel:[1,0,0]
	v_pk_fma_f16 v14, v11, v9, v1 op_sel:[1,0,0] neg_lo:[1,0,0] neg_hi:[1,0,0]
	v_pk_fma_f16 v1, v11, v9, v1 op_sel:[1,0,0] neg_lo:[0,0,1] neg_hi:[0,0,1]
	v_pk_add_f16 v9, v10, v13 op_sel:[0,1] op_sel_hi:[1,0]
	v_pk_add_f16 v10, v10, v13 op_sel:[0,1] op_sel_hi:[1,0] neg_lo:[0,1] neg_hi:[0,1]
	s_delay_alu instid0(VALU_DEP_4) | instskip(NEXT) | instid1(VALU_DEP_4)
	v_pk_add_f16 v11, v14, v13 op_sel:[0,1] op_sel_hi:[1,0] neg_lo:[0,1] neg_hi:[0,1]
	v_pk_add_f16 v1, v1, v13 op_sel:[0,1] op_sel_hi:[1,0] neg_lo:[0,1] neg_hi:[0,1]
	s_delay_alu instid0(VALU_DEP_3) | instskip(NEXT) | instid1(VALU_DEP_2)
	v_bfi_b32 v9, 0xffff, v9, v10
	v_bfi_b32 v1, 0xffff, v11, v1
	ds_store_b32 v22, v9 offset:272
	ds_store_b32 v8, v1 offset:952
	ds_load_b32 v1, v22 offset:408
	ds_load_b32 v9, v8 offset:816
	s_wait_dscnt 0x0
	v_pk_add_f16 v10, v1, v9 neg_lo:[0,1] neg_hi:[0,1]
	v_pk_add_f16 v1, v1, v9
	s_delay_alu instid0(VALU_DEP_1) | instskip(SKIP_1) | instid1(VALU_DEP_2)
	v_bfi_b32 v9, 0xffff, v10, v1
	v_bfi_b32 v1, 0xffff, v1, v10
	v_pk_mul_f16 v9, v9, 0.5 op_sel_hi:[1,0]
	s_delay_alu instid0(VALU_DEP_2) | instskip(SKIP_1) | instid1(VALU_DEP_2)
	v_pk_mul_f16 v1, v1, 0.5 op_sel_hi:[1,0]
	s_wait_loadcnt 0x0
	v_pk_mul_f16 v11, v12, v9 op_sel_hi:[0,1]
	s_delay_alu instid0(VALU_DEP_2) | instskip(SKIP_2) | instid1(VALU_DEP_3)
	v_pk_fma_f16 v10, v12, v9, v1 op_sel:[1,0,0]
	v_pk_fma_f16 v13, v12, v9, v1 op_sel:[1,0,0] neg_lo:[1,0,0] neg_hi:[1,0,0]
	v_pk_fma_f16 v1, v12, v9, v1 op_sel:[1,0,0] neg_lo:[0,0,1] neg_hi:[0,0,1]
	v_pk_add_f16 v9, v10, v11 op_sel:[0,1] op_sel_hi:[1,0]
	v_pk_add_f16 v10, v10, v11 op_sel:[0,1] op_sel_hi:[1,0] neg_lo:[0,1] neg_hi:[0,1]
	s_delay_alu instid0(VALU_DEP_4) | instskip(NEXT) | instid1(VALU_DEP_4)
	v_pk_add_f16 v12, v13, v11 op_sel:[0,1] op_sel_hi:[1,0] neg_lo:[0,1] neg_hi:[0,1]
	v_pk_add_f16 v1, v1, v11 op_sel:[0,1] op_sel_hi:[1,0] neg_lo:[0,1] neg_hi:[0,1]
	s_delay_alu instid0(VALU_DEP_3) | instskip(NEXT) | instid1(VALU_DEP_2)
	v_bfi_b32 v9, 0xffff, v9, v10
	v_bfi_b32 v1, 0xffff, v12, v1
	ds_store_b32 v22, v9 offset:408
	ds_store_b32 v8, v1 offset:816
	s_and_saveexec_b32 s1, s0
	s_cbranch_execz .LBB0_22
; %bb.21:
	global_load_b32 v1, v[6:7], off offset:544
	ds_load_b32 v6, v22 offset:544
	ds_load_b32 v7, v8 offset:680
	s_wait_dscnt 0x0
	v_pk_add_f16 v9, v6, v7 neg_lo:[0,1] neg_hi:[0,1]
	v_pk_add_f16 v6, v6, v7
	s_delay_alu instid0(VALU_DEP_1) | instskip(SKIP_1) | instid1(VALU_DEP_2)
	v_bfi_b32 v7, 0xffff, v9, v6
	v_bfi_b32 v6, 0xffff, v6, v9
	v_pk_mul_f16 v7, v7, 0.5 op_sel_hi:[1,0]
	s_delay_alu instid0(VALU_DEP_2) | instskip(SKIP_1) | instid1(VALU_DEP_1)
	v_pk_mul_f16 v6, v6, 0.5 op_sel_hi:[1,0]
	s_wait_loadcnt 0x0
	v_pk_fma_f16 v9, v1, v7, v6 op_sel:[1,0,0]
	v_pk_mul_f16 v10, v1, v7 op_sel_hi:[0,1]
	v_pk_fma_f16 v11, v1, v7, v6 op_sel:[1,0,0] neg_lo:[1,0,0] neg_hi:[1,0,0]
	v_pk_fma_f16 v1, v1, v7, v6 op_sel:[1,0,0] neg_lo:[0,0,1] neg_hi:[0,0,1]
	s_delay_alu instid0(VALU_DEP_3) | instskip(SKIP_1) | instid1(VALU_DEP_4)
	v_pk_add_f16 v6, v9, v10 op_sel:[0,1] op_sel_hi:[1,0]
	v_pk_add_f16 v7, v9, v10 op_sel:[0,1] op_sel_hi:[1,0] neg_lo:[0,1] neg_hi:[0,1]
	v_pk_add_f16 v9, v11, v10 op_sel:[0,1] op_sel_hi:[1,0] neg_lo:[0,1] neg_hi:[0,1]
	s_delay_alu instid0(VALU_DEP_4) | instskip(NEXT) | instid1(VALU_DEP_3)
	v_pk_add_f16 v1, v1, v10 op_sel:[0,1] op_sel_hi:[1,0] neg_lo:[0,1] neg_hi:[0,1]
	v_bfi_b32 v6, 0xffff, v6, v7
	s_delay_alu instid0(VALU_DEP_2)
	v_bfi_b32 v1, 0xffff, v9, v1
	ds_store_b32 v22, v6 offset:544
	ds_store_b32 v8, v1 offset:680
.LBB0_22:
	s_wait_alu 0xfffe
	s_or_b32 exec_lo, exec_lo, s1
	global_wb scope:SCOPE_SE
	s_wait_dscnt 0x0
	s_barrier_signal -1
	s_barrier_wait -1
	global_inv scope:SCOPE_SE
	s_and_saveexec_b32 s0, vcc_lo
	s_cbranch_execz .LBB0_25
; %bb.23:
	ds_load_2addr_b32 v[6:7], v22 offset1:34
	ds_load_2addr_b32 v[8:9], v22 offset0:68 offset1:102
	ds_load_2addr_b32 v[10:11], v22 offset0:136 offset1:170
	;; [unrolled: 1-line block ×3, first 2 shown]
	ds_load_b32 v14, v22 offset:1088
	v_add_co_u32 v1, vcc_lo, s8, v2
	s_wait_alu 0xfffd
	v_add_co_ci_u32_e32 v2, vcc_lo, s9, v3, vcc_lo
	s_delay_alu instid0(VALU_DEP_2) | instskip(SKIP_1) | instid1(VALU_DEP_2)
	v_add_co_u32 v3, vcc_lo, v1, v4
	s_wait_alu 0xfffd
	v_add_co_ci_u32_e32 v4, vcc_lo, v2, v5, vcc_lo
	v_cmp_eq_u32_e32 vcc_lo, 33, v0
	s_wait_dscnt 0x4
	s_clause 0x1
	global_store_b32 v[3:4], v6, off
	global_store_b32 v[3:4], v7, off offset:136
	s_wait_dscnt 0x3
	s_clause 0x1
	global_store_b32 v[3:4], v8, off offset:272
	global_store_b32 v[3:4], v9, off offset:408
	s_wait_dscnt 0x2
	s_clause 0x1
	global_store_b32 v[3:4], v10, off offset:544
	;; [unrolled: 4-line block ×3, first 2 shown]
	global_store_b32 v[3:4], v13, off offset:952
	s_wait_dscnt 0x0
	global_store_b32 v[3:4], v14, off offset:1088
	s_and_b32 exec_lo, exec_lo, vcc_lo
	s_cbranch_execz .LBB0_25
; %bb.24:
	ds_load_b32 v0, v22 offset:1092
	s_wait_dscnt 0x0
	global_store_b32 v[1:2], v0, off offset:1224
.LBB0_25:
	s_nop 0
	s_sendmsg sendmsg(MSG_DEALLOC_VGPRS)
	s_endpgm
	.section	.rodata,"a",@progbits
	.p2align	6, 0x0
	.amdhsa_kernel fft_rtc_fwd_len306_factors_17_2_9_wgs_238_tpt_34_halfLds_half_ip_CI_unitstride_sbrr_R2C_dirReg
		.amdhsa_group_segment_fixed_size 0
		.amdhsa_private_segment_fixed_size 0
		.amdhsa_kernarg_size 88
		.amdhsa_user_sgpr_count 2
		.amdhsa_user_sgpr_dispatch_ptr 0
		.amdhsa_user_sgpr_queue_ptr 0
		.amdhsa_user_sgpr_kernarg_segment_ptr 1
		.amdhsa_user_sgpr_dispatch_id 0
		.amdhsa_user_sgpr_private_segment_size 0
		.amdhsa_wavefront_size32 1
		.amdhsa_uses_dynamic_stack 0
		.amdhsa_enable_private_segment 0
		.amdhsa_system_sgpr_workgroup_id_x 1
		.amdhsa_system_sgpr_workgroup_id_y 0
		.amdhsa_system_sgpr_workgroup_id_z 0
		.amdhsa_system_sgpr_workgroup_info 0
		.amdhsa_system_vgpr_workitem_id 0
		.amdhsa_next_free_vgpr 161
		.amdhsa_next_free_sgpr 32
		.amdhsa_reserve_vcc 1
		.amdhsa_float_round_mode_32 0
		.amdhsa_float_round_mode_16_64 0
		.amdhsa_float_denorm_mode_32 3
		.amdhsa_float_denorm_mode_16_64 3
		.amdhsa_fp16_overflow 0
		.amdhsa_workgroup_processor_mode 1
		.amdhsa_memory_ordered 1
		.amdhsa_forward_progress 0
		.amdhsa_round_robin_scheduling 0
		.amdhsa_exception_fp_ieee_invalid_op 0
		.amdhsa_exception_fp_denorm_src 0
		.amdhsa_exception_fp_ieee_div_zero 0
		.amdhsa_exception_fp_ieee_overflow 0
		.amdhsa_exception_fp_ieee_underflow 0
		.amdhsa_exception_fp_ieee_inexact 0
		.amdhsa_exception_int_div_zero 0
	.end_amdhsa_kernel
	.text
.Lfunc_end0:
	.size	fft_rtc_fwd_len306_factors_17_2_9_wgs_238_tpt_34_halfLds_half_ip_CI_unitstride_sbrr_R2C_dirReg, .Lfunc_end0-fft_rtc_fwd_len306_factors_17_2_9_wgs_238_tpt_34_halfLds_half_ip_CI_unitstride_sbrr_R2C_dirReg
                                        ; -- End function
	.section	.AMDGPU.csdata,"",@progbits
; Kernel info:
; codeLenInByte = 11260
; NumSgprs: 34
; NumVgprs: 161
; ScratchSize: 0
; MemoryBound: 0
; FloatMode: 240
; IeeeMode: 1
; LDSByteSize: 0 bytes/workgroup (compile time only)
; SGPRBlocks: 4
; VGPRBlocks: 20
; NumSGPRsForWavesPerEU: 34
; NumVGPRsForWavesPerEU: 161
; Occupancy: 9
; WaveLimiterHint : 1
; COMPUTE_PGM_RSRC2:SCRATCH_EN: 0
; COMPUTE_PGM_RSRC2:USER_SGPR: 2
; COMPUTE_PGM_RSRC2:TRAP_HANDLER: 0
; COMPUTE_PGM_RSRC2:TGID_X_EN: 1
; COMPUTE_PGM_RSRC2:TGID_Y_EN: 0
; COMPUTE_PGM_RSRC2:TGID_Z_EN: 0
; COMPUTE_PGM_RSRC2:TIDIG_COMP_CNT: 0
	.text
	.p2alignl 7, 3214868480
	.fill 96, 4, 3214868480
	.type	__hip_cuid_bb947a6f2aca3c05,@object ; @__hip_cuid_bb947a6f2aca3c05
	.section	.bss,"aw",@nobits
	.globl	__hip_cuid_bb947a6f2aca3c05
__hip_cuid_bb947a6f2aca3c05:
	.byte	0                               ; 0x0
	.size	__hip_cuid_bb947a6f2aca3c05, 1

	.ident	"AMD clang version 19.0.0git (https://github.com/RadeonOpenCompute/llvm-project roc-6.4.0 25133 c7fe45cf4b819c5991fe208aaa96edf142730f1d)"
	.section	".note.GNU-stack","",@progbits
	.addrsig
	.addrsig_sym __hip_cuid_bb947a6f2aca3c05
	.amdgpu_metadata
---
amdhsa.kernels:
  - .args:
      - .actual_access:  read_only
        .address_space:  global
        .offset:         0
        .size:           8
        .value_kind:     global_buffer
      - .offset:         8
        .size:           8
        .value_kind:     by_value
      - .actual_access:  read_only
        .address_space:  global
        .offset:         16
        .size:           8
        .value_kind:     global_buffer
      - .actual_access:  read_only
        .address_space:  global
        .offset:         24
        .size:           8
        .value_kind:     global_buffer
      - .offset:         32
        .size:           8
        .value_kind:     by_value
      - .actual_access:  read_only
        .address_space:  global
        .offset:         40
        .size:           8
        .value_kind:     global_buffer
      - .actual_access:  read_only
        .address_space:  global
        .offset:         48
        .size:           8
        .value_kind:     global_buffer
      - .offset:         56
        .size:           4
        .value_kind:     by_value
      - .actual_access:  read_only
        .address_space:  global
        .offset:         64
        .size:           8
        .value_kind:     global_buffer
      - .actual_access:  read_only
        .address_space:  global
        .offset:         72
        .size:           8
        .value_kind:     global_buffer
      - .address_space:  global
        .offset:         80
        .size:           8
        .value_kind:     global_buffer
    .group_segment_fixed_size: 0
    .kernarg_segment_align: 8
    .kernarg_segment_size: 88
    .language:       OpenCL C
    .language_version:
      - 2
      - 0
    .max_flat_workgroup_size: 238
    .name:           fft_rtc_fwd_len306_factors_17_2_9_wgs_238_tpt_34_halfLds_half_ip_CI_unitstride_sbrr_R2C_dirReg
    .private_segment_fixed_size: 0
    .sgpr_count:     34
    .sgpr_spill_count: 0
    .symbol:         fft_rtc_fwd_len306_factors_17_2_9_wgs_238_tpt_34_halfLds_half_ip_CI_unitstride_sbrr_R2C_dirReg.kd
    .uniform_work_group_size: 1
    .uses_dynamic_stack: false
    .vgpr_count:     161
    .vgpr_spill_count: 0
    .wavefront_size: 32
    .workgroup_processor_mode: 1
amdhsa.target:   amdgcn-amd-amdhsa--gfx1201
amdhsa.version:
  - 1
  - 2
...

	.end_amdgpu_metadata
